;; amdgpu-corpus repo=ROCm/aiter kind=harvested arch=n/a opt=n/a

/root/src/amdgpu-assembly/repos/ROCm__aiter/hsa/gfx950/i8gemm/I8gemm_bf16_perTokenI8_BpreShuffle_64x128.co:	file format elf64-amdgpu

Disassembly of section .text:

0000000000002000 <_ZN5aiter41I8gemm_bf16_perTokenI8_BpreShuffle_64x128E>:
	s_and_b32 s1, s1, 0xffff                                   // 000000002000: 8601FF01 0000FFFF
	s_load_dwordx2 s[16:17], s[0:1], 0x0                       // 000000002008: C0060400 00000000
	s_load_dwordx2 s[4:5], s[0:1], 0x10                        // 000000002010: C0060100 00000010
	s_load_dwordx2 s[8:9], s[0:1], 0x20                        // 000000002018: C0060200 00000020
	s_load_dwordx2 s[20:21], s[0:1], 0x30                      // 000000002020: C0060500 00000030
	s_load_dwordx2 s[24:25], s[0:1], 0x40                      // 000000002028: C0060600 00000040
	s_load_dwordx2 s[28:29], s[0:1], 0x50                      // 000000002030: C0060700 00000050
	s_load_dword s32, s[0:1], 0x60                             // 000000002038: C0020800 00000060
	s_load_dword s33, s[0:1], 0x70                             // 000000002040: C0020840 00000070
	s_load_dword s34, s[0:1], 0x80                             // 000000002048: C0020880 00000080
	s_load_dword s35, s[0:1], 0x90                             // 000000002050: C00208C0 00000090
	s_load_dword s36, s[0:1], 0xa0                             // 000000002058: C0020900 000000A0
	s_load_dword s37, s[0:1], 0xb0                             // 000000002060: C0020940 000000B0
	s_load_dword s38, s[0:1], 0xc0                             // 000000002068: C0020980 000000C0
	v_lshrrev_b32_e32 v1, 10, v0                               // 000000002070: 2002008A
	v_lshrrev_b32_e32 v2, 10, v1                               // 000000002074: 2004028A
	v_and_b32_e32 v2, 0x3ff, v2                                // 000000002078: 260404FF 000003FF
	v_and_b32_e32 v1, 0x3ff, v1                                // 000000002080: 260202FF 000003FF
	v_and_b32_e32 v0, 0x3ff, v0                                // 000000002088: 260000FF 000003FF
	v_lshrrev_b32_e32 v3, 6, v0                                // 000000002090: 20060086
	v_and_b32_e32 v0, 63, v0                                   // 000000002094: 260000BF
	s_mov_b32 s41, s2                                          // 000000002098: BEA90002
	s_mov_b32 s42, s3                                          // 00000000209C: BEAA0003
	s_waitcnt lgkmcnt(0)                                       // 0000000020A0: BF8CC07F
	v_readfirstlane_b32 s44, v3                                // 0000000020A4: 7E580503
	s_mov_b32 s6, 0x80000000                                   // 0000000020A8: BE8600FF 80000000
	s_mov_b32 s10, 0x80000000                                  // 0000000020B0: BE8A00FF 80000000
	s_mov_b32 s22, 0x80000000                                  // 0000000020B8: BE9600FF 80000000
	s_mov_b32 s26, 0x80000000                                  // 0000000020C0: BE9A00FF 80000000
	s_mov_b32 s30, 0x80000000                                  // 0000000020C8: BE9E00FF 80000000
	s_mov_b32 s7, 0x20000                                      // 0000000020D0: BE8700FF 00020000
	s_mov_b32 s11, 0x20000                                     // 0000000020D8: BE8B00FF 00020000
	s_mov_b32 s23, 0x20000                                     // 0000000020E0: BE9700FF 00020000
	s_mov_b32 s27, 0x20000                                     // 0000000020E8: BE9B00FF 00020000
	s_mov_b32 s31, 0x20000                                     // 0000000020F0: BE9F00FF 00020000
	s_and_b32 s5, s5, 0xffff                                   // 0000000020F8: 8605FF05 0000FFFF
	s_and_b32 s9, s9, 0xffff                                   // 000000002100: 8609FF09 0000FFFF
	s_and_b32 s21, s21, 0xffff                                 // 000000002108: 8615FF15 0000FFFF
	s_and_b32 s25, s25, 0xffff                                 // 000000002110: 8619FF19 0000FFFF
	s_and_b32 s29, s29, 0xffff                                 // 000000002118: 861DFF1D 0000FFFF
	s_or_b32 s5, s5, 0x40000                                   // 000000002120: 8705FF05 00040000
	s_or_b32 s9, s9, 0x40000                                   // 000000002128: 8709FF09 00040000
	s_or_b32 s21, s21, 0x40000                                 // 000000002130: 8715FF15 00040000
	s_or_b32 s25, s25, 0x40000                                 // 000000002138: 8719FF19 00040000
	s_or_b32 s29, s29, 0x40000                                 // 000000002140: 871DFF1D 00040000
	s_mov_b32 s56, s41                                         // 000000002148: BEB80029
	s_mov_b32 s57, s38                                         // 00000000214C: BEB90026
	v_cvt_f32_u32_e32 v4, s57                                  // 000000002150: 7E080C39
	s_sub_i32 s47, 0, s57                                      // 000000002154: 81AF3980
	v_rcp_iflag_f32_e32 v4, v4                                 // 000000002158: 7E084704
	s_nop 0                                                    // 00000000215C: BF800000
	v_mul_f32_e32 v4, 0x4f7ffffe, v4                           // 000000002160: 0A0808FF 4F7FFFFE
	v_cvt_u32_f32_e32 v4, v4                                   // 000000002168: 7E080F04
	v_mul_lo_u32 v5, s47, v4                                   // 00000000216C: D2850005 0002082F
	v_mul_hi_u32 v5, v4, v5                                    // 000000002174: D2860005 00020B04
	v_add_u32_e32 v4, v4, v5                                   // 00000000217C: 68080B04
	v_mul_hi_u32 v4, s56, v4                                   // 000000002180: D2860004 00020838
	v_mul_lo_u32 v5, v4, s57                                   // 000000002188: D2850005 00007304
	v_sub_u32_e32 v7, s56, v5                                  // 000000002190: 6A0E0A38
	v_add_u32_e32 v6, 1, v4                                    // 000000002194: 680C0881
	v_cmp_le_u32_e32 vcc, s57, v7                              // 000000002198: 7D960E39
	v_subrev_u32_e32 v5, s57, v7                               // 00000000219C: 6C0A0E39
	s_nop 0                                                    // 0000000021A0: BF800000
	v_cndmask_b32_e32 v4, v4, v6, vcc                          // 0000000021A4: 00080D04
	v_cndmask_b32_e32 v7, v7, v5, vcc                          // 0000000021A8: 000E0B07
	v_add_u32_e32 v5, 1, v4                                    // 0000000021AC: 680A0881
	v_cmp_le_u32_e32 vcc, s57, v7                              // 0000000021B0: 7D960E39
	s_nop 1                                                    // 0000000021B4: BF800001
	v_cndmask_b32_e32 v7, v4, v5, vcc                          // 0000000021B8: 000E0B04
	s_nop 3                                                    // 0000000021BC: BF800003
	v_readfirstlane_b32 s58, v7                                // 0000000021C0: 7E740507
	s_nop 3                                                    // 0000000021C4: BF800003
	s_mov_b32 s41, s58                                         // 0000000021C8: BEA9003A
	s_mul_i32 s47, s41, s38                                    // 0000000021CC: 922F2629
	s_sub_u32 s75, s56, s47                                    // 0000000021D0: 80CB2F38
	s_mov_b32 s56, s34                                         // 0000000021D4: BEB80022
	s_mov_b32 s57, s38                                         // 0000000021D8: BEB90026
	v_cvt_f32_u32_e32 v4, s57                                  // 0000000021DC: 7E080C39
	s_sub_i32 s47, 0, s57                                      // 0000000021E0: 81AF3980
	v_rcp_iflag_f32_e32 v4, v4                                 // 0000000021E4: 7E084704
	s_nop 0                                                    // 0000000021E8: BF800000
	v_mul_f32_e32 v4, 0x4f7ffffe, v4                           // 0000000021EC: 0A0808FF 4F7FFFFE
	v_cvt_u32_f32_e32 v4, v4                                   // 0000000021F4: 7E080F04
	v_mul_lo_u32 v5, s47, v4                                   // 0000000021F8: D2850005 0002082F
	v_mul_hi_u32 v5, v4, v5                                    // 000000002200: D2860005 00020B04
	v_add_u32_e32 v4, v4, v5                                   // 000000002208: 68080B04
	v_mul_hi_u32 v4, s56, v4                                   // 00000000220C: D2860004 00020838
	v_mul_lo_u32 v5, v4, s57                                   // 000000002214: D2850005 00007304
	v_sub_u32_e32 v7, s56, v5                                  // 00000000221C: 6A0E0A38
	v_add_u32_e32 v6, 1, v4                                    // 000000002220: 680C0881
	v_cmp_le_u32_e32 vcc, s57, v7                              // 000000002224: 7D960E39
	v_subrev_u32_e32 v5, s57, v7                               // 000000002228: 6C0A0E39
	s_nop 0                                                    // 00000000222C: BF800000
	v_cndmask_b32_e32 v4, v4, v6, vcc                          // 000000002230: 00080D04
	v_cndmask_b32_e32 v7, v7, v5, vcc                          // 000000002234: 000E0B07
	v_add_u32_e32 v5, 1, v4                                    // 000000002238: 680A0881
	v_cmp_le_u32_e32 vcc, s57, v7                              // 00000000223C: 7D960E39
	s_nop 1                                                    // 000000002240: BF800001
	v_cndmask_b32_e32 v7, v4, v5, vcc                          // 000000002244: 000E0B04
	s_nop 3                                                    // 000000002248: BF800003
	v_readfirstlane_b32 s58, v7                                // 00000000224C: 7E740507
	s_nop 3                                                    // 000000002250: BF800003
	s_add_u32 s58, 0x7f, s58                                   // 000000002254: 803A3AFF 0000007F
	s_lshr_b32 s58, s58, 7                                     // 00000000225C: 8F3A873A
	s_lshl_b32 s76, s58, 7                                     // 000000002260: 8E4C873A
	s_mul_i32 s48, s76, s75                                    // 000000002264: 92304B4C
	s_sub_i32 s47, s34, s48                                    // 000000002268: 81AF3022
	s_cmp_lt_i32 s47, s76                                      // 00000000226C: BF044C2F
	s_cselect_b32 s34, s47, s76                                // 000000002270: 85224C2F
	s_mul_i32 s47, s42, 64                                     // 000000002274: 922FC02A
	s_mul_i32 s48, s47, s37                                    // 000000002278: 9230252F
	s_mul_hi_u32 s49, s47, s37                                 // 00000000227C: 9631252F
	s_add_u32 s16, s16, s48                                    // 000000002280: 80103010
	s_addc_u32 s17, s17, s49                                   // 000000002284: 82113111
	s_mul_i32 s47, s41, 0x80                                   // 000000002288: 922FFF29 00000080
	s_mul_i32 s48, s47, 2                                      // 000000002290: 9230822F
	s_mul_hi_u32 s49, s47, 2                                   // 000000002294: 9631822F
	s_add_u32 s16, s16, s48                                    // 000000002298: 80103010
	s_addc_u32 s17, s17, s49                                   // 00000000229C: 82113111
	s_mov_b32 s80, s16                                         // 0000000022A0: BED00010
	s_mov_b32 s81, s17                                         // 0000000022A4: BED10011
	s_mul_i32 s47, s42, 64                                     // 0000000022A8: 922FC02A
	s_sub_i32 s48, s32, s47                                    // 0000000022AC: 81B02F20
	s_cmp_lt_u32 s48, 64                                       // 0000000022B0: BF0AC030
	s_cselect_b32 s47, s48, 64                                 // 0000000022B4: 852FC030
	s_mul_i32 s48, s47, s37                                    // 0000000022B8: 9230252F
	s_mov_b32 s18, s48                                         // 0000000022BC: BE920030
	s_mov_b32 s82, 0x80000000                                  // 0000000022C0: BED200FF 80000000
	s_mov_b32 s19, 0x20000                                     // 0000000022C8: BE9300FF 00020000
	s_and_b32 s17, s17, 0xffff                                 // 0000000022D0: 8611FF11 0000FFFF
	s_and_b32 s81, s81, 0xffff                                 // 0000000022D8: 8651FF51 0000FFFF
	s_or_b32 s17, s17, 0x40000                                 // 0000000022E0: 8711FF11 00040000
	s_mov_b32 s45, 0x7060302                                   // 0000000022E8: BEAD00FF 07060302
	v_mov_b32_e32 v13, 0xffff0000                              // 0000000022F0: 7E1A02FF FFFF0000
	v_mov_b32_e32 v14, 0x7fff0000                              // 0000000022F8: 7E1C02FF 7FFF0000
	v_mov_b32_e32 v15, 0x7fff                                  // 000000002300: 7E1E02FF 00007FFF
	s_mul_i32 s47, 0x80, s41                                   // 000000002308: 922F29FF 00000080
	s_mul_hi_u32 s48, 4, s47                                   // 000000002310: 96302F84
	s_add_u32 s29, s29, s48                                    // 000000002314: 801D301D
	s_mul_i32 s48, 4, s47                                      // 000000002318: 92302F84
	s_add_u32 s28, s28, s48                                    // 00000000231C: 801C301C
	s_addc_u32 s29, s29, 0                                     // 000000002320: 821D801D
	s_sub_i32 s48, s33, s47                                    // 000000002324: 81B02F21
	s_cmp_lt_u32 s48, 0x80                                     // 000000002328: BF0AFF30 00000080
	s_cselect_b32 s47, s48, 0x80                               // 000000002330: 852FFF30 00000080
	s_mul_i32 s48, 4, s47                                      // 000000002338: 92302F84
	s_mov_b32 s30, s48                                         // 00000000233C: BE9E0030
	s_mov_b32 s31, 0x20000                                     // 000000002340: BE9F00FF 00020000
	v_lshrrev_b32_e32 v4, 4, v0                                // 000000002348: 20080084
	v_lshlrev_b32_e32 v4, 4, v4                                // 00000000234C: 24080884
	s_mul_i32 s49, s44, 0x80                                   // 000000002350: 9231FF2C 00000080
	v_add_u32_e64 v110, v4, s49                                // 000000002358: D134006E 00006304
	v_add_u32_e64 v111, v110, 64                               // 000000002360: D134006F 0001816E
	buffer_load_dwordx4 v[112:115], v110, s[28:31], 0 offen    // 000000002368: E05C1000 8007706E
	buffer_load_dwordx4 v[116:119], v111, s[28:31], 0 offen    // 000000002370: E05C1000 8007746F
	s_mul_i32 s47, 64, s42                                     // 000000002378: 922F2AC0
	s_mul_hi_u32 s48, 4, s47                                   // 00000000237C: 96302F84
	s_add_u32 s21, s21, s48                                    // 000000002380: 80153015
	s_mul_i32 s48, 4, s47                                      // 000000002384: 92302F84
	s_add_u32 s20, s20, s48                                    // 000000002388: 80143014
	s_addc_u32 s21, s21, 0                                     // 00000000238C: 82158015
	s_sub_i32 s48, s32, s47                                    // 000000002390: 81B02F20
	s_cmp_lt_u32 s48, 64                                       // 000000002394: BF0AC030
	s_cselect_b32 s47, s48, 64                                 // 000000002398: 852FC030
	s_mul_i32 s48, 4, s47                                      // 00000000239C: 92302F84
	s_mov_b32 s22, s48                                         // 0000000023A0: BE960030
	s_mov_b32 s23, 0x20000                                     // 0000000023A4: BE9700FF 00020000
	v_and_b32_e64 v106, v0, 15                                 // 0000000023AC: D113006A 00011F00
	v_lshlrev_b32_e32 v106, 2, v106                            // 0000000023B4: 24D4D482
	buffer_load_dword v90, v106, s[20:23], 0 offen             // 0000000023B8: E0501000 80055A6A
	buffer_load_dword v91, v106, s[20:23], 0 offen offset:64   // 0000000023C0: E0501040 80055B6A
	buffer_load_dword v92, v106, s[20:23], 0 offen offset:128  // 0000000023C8: E0501080 80055C6A
	buffer_load_dword v93, v106, s[20:23], 0 offen offset:192  // 0000000023D0: E05010C0 80055D6A
	s_mul_i32 s47, 0x80, s41                                   // 0000000023D8: 922F29FF 00000080
	s_mul_hi_u32 s48, 4, s47                                   // 0000000023E0: 96302F84
	s_add_u32 s25, s25, s48                                    // 0000000023E4: 80193019
	s_mul_i32 s48, 4, s47                                      // 0000000023E8: 92302F84
	s_add_u32 s24, s24, s48                                    // 0000000023EC: 80183018
	s_addc_u32 s25, s25, 0                                     // 0000000023F0: 82198019
	s_sub_i32 s48, s33, s47                                    // 0000000023F4: 81B02F21
	s_cmp_lt_u32 s48, 0x80                                     // 0000000023F8: BF0AFF30 00000080
	s_cselect_b32 s47, s48, 0x80                               // 000000002400: 852FFF30 00000080
	s_mul_i32 s48, 4, s47                                      // 000000002408: 92302F84
	s_mov_b32 s26, s48                                         // 00000000240C: BE9A0030
	s_mov_b32 s27, 0x20000                                     // 000000002410: BE9B00FF 00020000
	v_lshrrev_b32_e32 v4, 4, v0                                // 000000002418: 20080084
	v_lshlrev_b32_e32 v4, 4, v4                                // 00000000241C: 24080884
	s_mul_i32 s49, s44, 0x80                                   // 000000002420: 9231FF2C 00000080
	v_add_u32_e64 v108, v4, s49                                // 000000002428: D134006C 00006304
	v_add_u32_e64 v109, v108, 64                               // 000000002430: D134006D 0001816C
	buffer_load_dwordx4 v[98:101], v108, s[24:27], 0 offen     // 000000002438: E05C1000 8006626C
	buffer_load_dwordx4 v[102:105], v109, s[24:27], 0 offen    // 000000002440: E05C1000 8006666D
	v_lshrrev_b32_e32 v4, 5, v0                                // 000000002448: 20080085
	v_lshlrev_b32_e32 v4, 2, v4                                // 00000000244C: 24080882
	v_mul_i32_i24_e32 v4, s35, v4                              // 000000002450: 0C080823
	v_and_b32_e32 v26, 31, v0                                  // 000000002454: 2634009F
	v_lshlrev_b32_e32 v26, 2, v26                              // 000000002458: 24343482
	s_mul_i32 s47, 64, s42                                     // 00000000245C: 922F2AC0
	s_sub_i32 s48, s32, s47                                    // 000000002460: 81B02F20
	s_cmp_lt_u32 s48, 64                                       // 000000002464: BF0AC030
	s_cselect_b32 s48, s48, 64                                 // 000000002468: 8530C030
	s_mul_i32 s49, s35, s47                                    // 00000000246C: 92312F23
	s_mul_hi_u32 s47, s35, s47                                 // 000000002470: 962F2F23
	s_add_u32 s4, s4, s49                                      // 000000002474: 80043104
	s_addc_u32 s5, s5, s47                                     // 000000002478: 82052F05
	s_mul_i32 s47, s35, s48                                    // 00000000247C: 922F3023
	s_mov_b32 s6, s47                                          // 000000002480: BE86002F
	s_mov_b32 s7, 0x20000                                      // 000000002484: BE8700FF 00020000
	s_mul_i32 s48, s76, s75                                    // 00000000248C: 92304B4C
	s_add_u32 s4, s48, s4                                      // 000000002490: 80040430
	s_addc_u32 s5, 0, s5                                       // 000000002494: 82050580
	s_sub_u32 s6, s6, s48                                      // 000000002498: 80863006
	s_mul_i32 s47, s35, s44                                    // 00000000249C: 922F2C23
	v_add3_u32 v26, v4, v26, s47                               // 0000000024A0: D1FF001A 00BE3504
	s_lshl_b32 s47, s35, 3                                     // 0000000024A8: 8E2F8323
	v_add_u32_e32 v27, s47, v26                                // 0000000024AC: 6836342F
	v_add_u32_e32 v28, s47, v27                                // 0000000024B0: 6838362F
	v_add_u32_e32 v29, s47, v28                                // 0000000024B4: 683A382F
	v_add_u32_e32 v30, s47, v29                                // 0000000024B8: 683C3A2F
	v_add_u32_e32 v31, s47, v30                                // 0000000024BC: 683E3C2F
	v_add_u32_e32 v32, s47, v31                                // 0000000024C0: 68403E2F
	v_add_u32_e32 v33, s47, v32                                // 0000000024C4: 6842402F
	s_mov_b32 s51, 0x80                                        // 0000000024C8: BEB300FF 00000080
	s_mov_b32 s47, 64                                          // 0000000024D0: BEAF00C0
	s_lshr_b32 s47, s47, 2                                     // 0000000024D4: 8F2F822F
	s_mul_i32 s47, s47, 32                                     // 0000000024D8: 922FA02F
	s_mov_b32 s48, 8                                           // 0000000024DC: BEB00088
	s_add_u32 s47, s47, s48                                    // 0000000024E0: 802F302F
	v_lshrrev_b32_e32 v4, 4, v0                                // 0000000024E4: 20080084
	v_and_b32_e32 v5, 15, v0                                   // 0000000024E8: 260A008F
	v_and_b32_e32 v6, 3, v5                                    // 0000000024EC: 260C0A83
	v_lshrrev_b32_e32 v7, 2, v5                                // 0000000024F0: 200E0A82
	v_lshlrev_b32_e32 v4, 2, v4                                // 0000000024F4: 24080882
	v_mul_lo_u32 v6, v6, s47                                   // 0000000024F8: D2850006 00005F06
	v_lshlrev_b32_e32 v7, 5, v7                                // 000000002500: 240E0E85
	v_add_u32_e32 v4, v4, v6                                   // 000000002504: 68080D04
	v_add_u32_e32 v4, v4, v7                                   // 000000002508: 68080F04
	v_lshlrev_b32_e32 v34, 2, v4                               // 00000000250C: 24440882
	s_mul_i32 s47, 0x820, s44                                  // 000000002510: 922F2CFF 00000820
	s_add_u32 s53, 0, s47                                      // 000000002518: 80352F80
	s_add_u32 s54, 0x2080, s53                                 // 00000000251C: 803635FF 00002080
	s_add_u32 s55, 0x2080, s54                                 // 000000002524: 803736FF 00002080
	s_mov_b32 s52, 0x800                                       // 00000000252C: BEB400FF 00000800
	s_mul_i32 s46, 0x80, s41                                   // 000000002534: 922E29FF 00000080
	s_sub_i32 s48, s33, s46                                    // 00000000253C: 81B02E21
	s_cmp_lt_u32 s48, 0x80                                     // 000000002540: BF0AFF30 00000080
	s_cselect_b32 s47, s48, 0x80                               // 000000002548: 852FFF30 00000080
	s_mul_i32 s48, s36, s46                                    // 000000002550: 92302E24
	s_mul_hi_u32 s49, s36, s46                                 // 000000002554: 96312E24
	s_add_u32 s8, s8, s48                                      // 000000002558: 80083008
	s_addc_u32 s9, s9, s49                                     // 00000000255C: 82093109
	s_mul_i32 s48, s36, s47                                    // 000000002560: 92302F24
	s_mov_b32 s10, s48                                         // 000000002564: BE8A0030
	s_mov_b32 s11, 0x20000                                     // 000000002568: BE8B00FF 00020000
	s_lshr_b32 s48, s76, 7                                     // 000000002570: 8F30874C
	s_mul_i32 s47, s52, s75                                    // 000000002574: 922F4B34
	s_mul_i32 s47, s48, s47                                    // 000000002578: 922F2F30
	s_add_u32 s8, s47, s8                                      // 00000000257C: 8008082F
	s_addc_u32 s9, 0, s9                                       // 000000002580: 82090980
	s_sub_u32 s10, s10, s47                                    // 000000002584: 808A2F0A
	s_lshl_b32 s47, s44, 5                                     // 000000002588: 8E2F852C
	s_mul_i32 s47, s36, s47                                    // 00000000258C: 922F2F24
	v_lshlrev_b32_e32 v36, 4, v0                               // 000000002590: 24480084
	v_add_u32_e32 v36, s47, v36                                // 000000002594: 6848482F
	s_mov_b32 s47, 0x400                                       // 000000002598: BEAF00FF 00000400
	v_add_u32_e64 v37, v36, s47                                // 0000000025A0: D1340025 00005F24
	s_mul_i32 s47, s36, 16                                     // 0000000025A8: 922F9024
	v_add_u32_e64 v38, v36, s47                                // 0000000025AC: D1340026 00005F24
	v_add_u32_e64 v39, v37, s47                                // 0000000025B4: D1340027 00005F25
	s_add_u32 m0, 0, s53                                       // 0000000025BC: 807C3580
	buffer_load_dword v26, s[4:7], 0 offen lds                 // 0000000025C0: E0511000 8001001A
	s_add_u32 m0, 0x100, s53                                   // 0000000025C8: 807C35FF 00000100
	buffer_load_dword v27, s[4:7], 0 offen lds                 // 0000000025D0: E0511000 8001001B
	s_add_u32 m0, 0x200, s53                                   // 0000000025D8: 807C35FF 00000200
	buffer_load_dword v28, s[4:7], 0 offen lds                 // 0000000025E0: E0511000 8001001C
	s_add_u32 m0, 0x300, s53                                   // 0000000025E8: 807C35FF 00000300
	buffer_load_dword v29, s[4:7], 0 offen lds                 // 0000000025F0: E0511000 8001001D
	s_add_u32 m0, 0x400, s53                                   // 0000000025F8: 807C35FF 00000400
	buffer_load_dword v30, s[4:7], 0 offen lds                 // 000000002600: E0511000 8001001E
	s_add_u32 m0, 0x500, s53                                   // 000000002608: 807C35FF 00000500
	buffer_load_dword v31, s[4:7], 0 offen lds                 // 000000002610: E0511000 8001001F
	s_add_u32 m0, 0x600, s53                                   // 000000002618: 807C35FF 00000600
	buffer_load_dword v32, s[4:7], 0 offen lds                 // 000000002620: E0511000 80010020
	s_add_u32 m0, 0x700, s53                                   // 000000002628: 807C35FF 00000700
	buffer_load_dword v33, s[4:7], 0 offen lds                 // 000000002630: E0511000 80010021
	s_mov_b32 s50, 0                                           // 000000002638: BEB20080
	s_add_u32 s47, 0x80, s50                                   // 00000000263C: 802F32FF 00000080
	s_cmp_lt_u32 s47, s34                                      // 000000002644: BF0A222F
	s_cselect_b32 s51, s51, 0                                  // 000000002648: 85338033
	s_add_u32 s4, s51, s4                                      // 00000000264C: 80040433
	s_addc_u32 s5, 0, s5                                       // 000000002650: 82050580
	s_sub_u32 s6, s6, s51                                      // 000000002654: 80863306
	v_mov_b32_e32 v42, 0                                       // 000000002658: 7E540280
	v_mov_b32_e32 v43, 0                                       // 00000000265C: 7E560280
	v_mov_b32_e32 v44, 0                                       // 000000002660: 7E580280
	v_mov_b32_e32 v45, 0                                       // 000000002664: 7E5A0280
	v_mov_b32_e32 v46, 0                                       // 000000002668: 7E5C0280
	v_mov_b32_e32 v47, 0                                       // 00000000266C: 7E5E0280
	v_mov_b32_e32 v48, 0                                       // 000000002670: 7E600280
	v_mov_b32_e32 v49, 0                                       // 000000002674: 7E620280
	buffer_load_dwordx4 a[0:3], v36, s[8:11], 0 offen          // 000000002678: E05C1000 80820024
	buffer_load_dwordx4 a[4:7], v37, s[8:11], 0 offen          // 000000002680: E05C1000 80820425
	buffer_load_dwordx4 a[8:11], v38, s[8:11], 0 offen         // 000000002688: E05C1000 80820826
	buffer_load_dwordx4 a[12:15], v39, s[8:11], 0 offen        // 000000002690: E05C1000 80820C27
	s_mov_b32 s50, 0                                           // 000000002698: BEB20080
	s_add_u32 s47, 0x80, s50                                   // 00000000269C: 802F32FF 00000080
	s_cmp_lt_u32 s47, s34                                      // 0000000026A4: BF0A222F
	s_cselect_b32 s52, s52, 0                                  // 0000000026A8: 85348034
	s_add_u32 s8, s52, s8                                      // 0000000026AC: 80080834
	s_addc_u32 s9, 0, s9                                       // 0000000026B0: 82090980
	s_sub_u32 s10, s10, s52                                    // 0000000026B4: 808A340A
	s_add_u32 m0, 0, s54                                       // 0000000026B8: 807C3680
	buffer_load_dword v26, s[4:7], 0 offen lds                 // 0000000026BC: E0511000 8001001A
	s_add_u32 m0, 0x100, s54                                   // 0000000026C4: 807C36FF 00000100
	buffer_load_dword v27, s[4:7], 0 offen lds                 // 0000000026CC: E0511000 8001001B
	s_add_u32 m0, 0x200, s54                                   // 0000000026D4: 807C36FF 00000200
	buffer_load_dword v28, s[4:7], 0 offen lds                 // 0000000026DC: E0511000 8001001C
	s_add_u32 m0, 0x300, s54                                   // 0000000026E4: 807C36FF 00000300
	buffer_load_dword v29, s[4:7], 0 offen lds                 // 0000000026EC: E0511000 8001001D
	s_add_u32 m0, 0x400, s54                                   // 0000000026F4: 807C36FF 00000400
	buffer_load_dword v30, s[4:7], 0 offen lds                 // 0000000026FC: E0511000 8001001E
	s_add_u32 m0, 0x500, s54                                   // 000000002704: 807C36FF 00000500
	buffer_load_dword v31, s[4:7], 0 offen lds                 // 00000000270C: E0511000 8001001F
	s_add_u32 m0, 0x600, s54                                   // 000000002714: 807C36FF 00000600
	buffer_load_dword v32, s[4:7], 0 offen lds                 // 00000000271C: E0511000 80010020
	s_add_u32 m0, 0x700, s54                                   // 000000002724: 807C36FF 00000700
	buffer_load_dword v33, s[4:7], 0 offen lds                 // 00000000272C: E0511000 80010021
	s_mov_b32 s50, 0x80                                        // 000000002734: BEB200FF 00000080
	s_add_u32 s47, 0x80, s50                                   // 00000000273C: 802F32FF 00000080
	s_cmp_lt_u32 s47, s34                                      // 000000002744: BF0A222F
	s_cselect_b32 s51, s51, 0                                  // 000000002748: 85338033
	s_add_u32 s4, s51, s4                                      // 00000000274C: 80040433
	s_addc_u32 s5, 0, s5                                       // 000000002750: 82050580
	s_sub_u32 s6, s6, s51                                      // 000000002754: 80863306
	v_mov_b32_e32 v50, 0                                       // 000000002758: 7E640280
	v_mov_b32_e32 v51, 0                                       // 00000000275C: 7E660280
	v_mov_b32_e32 v52, 0                                       // 000000002760: 7E680280
	v_mov_b32_e32 v53, 0                                       // 000000002764: 7E6A0280
	v_mov_b32_e32 v54, 0                                       // 000000002768: 7E6C0280
	v_mov_b32_e32 v55, 0                                       // 00000000276C: 7E6E0280
	v_mov_b32_e32 v56, 0                                       // 000000002770: 7E700280
	v_mov_b32_e32 v57, 0                                       // 000000002774: 7E720280
	buffer_load_dwordx4 a[16:19], v36, s[8:11], 0 offen        // 000000002778: E05C1000 80821024
	buffer_load_dwordx4 a[20:23], v37, s[8:11], 0 offen        // 000000002780: E05C1000 80821425
	;; [unrolled: 1-line block ×3, first 2 shown]
	buffer_load_dwordx4 a[28:31], v39, s[8:11], 0 offen        // 000000002790: E05C1000 80821C27
	s_mov_b32 s50, 0x80                                        // 000000002798: BEB200FF 00000080
	s_add_u32 s47, 0x80, s50                                   // 0000000027A0: 802F32FF 00000080
	s_cmp_lt_u32 s47, s34                                      // 0000000027A8: BF0A222F
	s_cselect_b32 s52, s52, 0                                  // 0000000027AC: 85348034
	s_add_u32 s8, s52, s8                                      // 0000000027B0: 80080834
	s_addc_u32 s9, 0, s9                                       // 0000000027B4: 82090980
	s_sub_u32 s10, s10, s52                                    // 0000000027B8: 808A340A
	s_add_u32 m0, 0, s55                                       // 0000000027BC: 807C3780
	buffer_load_dword v26, s[4:7], 0 offen lds                 // 0000000027C0: E0511000 8001001A
	s_add_u32 m0, 0x100, s55                                   // 0000000027C8: 807C37FF 00000100
	buffer_load_dword v27, s[4:7], 0 offen lds                 // 0000000027D0: E0511000 8001001B
	s_add_u32 m0, 0x200, s55                                   // 0000000027D8: 807C37FF 00000200
	buffer_load_dword v28, s[4:7], 0 offen lds                 // 0000000027E0: E0511000 8001001C
	s_add_u32 m0, 0x300, s55                                   // 0000000027E8: 807C37FF 00000300
	buffer_load_dword v29, s[4:7], 0 offen lds                 // 0000000027F0: E0511000 8001001D
	s_add_u32 m0, 0x400, s55                                   // 0000000027F8: 807C37FF 00000400
	buffer_load_dword v30, s[4:7], 0 offen lds                 // 000000002800: E0511000 8001001E
	s_add_u32 m0, 0x500, s55                                   // 000000002808: 807C37FF 00000500
	buffer_load_dword v31, s[4:7], 0 offen lds                 // 000000002810: E0511000 8001001F
	s_add_u32 m0, 0x600, s55                                   // 000000002818: 807C37FF 00000600
	buffer_load_dword v32, s[4:7], 0 offen lds                 // 000000002820: E0511000 80010020
	s_add_u32 m0, 0x700, s55                                   // 000000002828: 807C37FF 00000700
	buffer_load_dword v33, s[4:7], 0 offen lds                 // 000000002830: E0511000 80010021
	s_mov_b32 s50, 0x100                                       // 000000002838: BEB200FF 00000100
	s_add_u32 s47, 0x80, s50                                   // 000000002840: 802F32FF 00000080
	s_cmp_lt_u32 s47, s34                                      // 000000002848: BF0A222F
	s_cselect_b32 s51, s51, 0                                  // 00000000284C: 85338033
	s_add_u32 s4, s51, s4                                      // 000000002850: 80040433
	s_addc_u32 s5, 0, s5                                       // 000000002854: 82050580
	s_sub_u32 s6, s6, s51                                      // 000000002858: 80863306
	v_mov_b32_e32 v58, 0                                       // 00000000285C: 7E740280
	v_mov_b32_e32 v59, 0                                       // 000000002860: 7E760280
	v_mov_b32_e32 v60, 0                                       // 000000002864: 7E780280
	v_mov_b32_e32 v61, 0                                       // 000000002868: 7E7A0280
	v_mov_b32_e32 v62, 0                                       // 00000000286C: 7E7C0280
	v_mov_b32_e32 v63, 0                                       // 000000002870: 7E7E0280
	v_mov_b32_e32 v64, 0                                       // 000000002874: 7E800280
	v_mov_b32_e32 v65, 0                                       // 000000002878: 7E820280
	v_mov_b32_e32 v66, 0                                       // 00000000287C: 7E840280
	v_mov_b32_e32 v67, 0                                       // 000000002880: 7E860280
	v_mov_b32_e32 v68, 0                                       // 000000002884: 7E880280
	v_mov_b32_e32 v69, 0                                       // 000000002888: 7E8A0280
	v_mov_b32_e32 v70, 0                                       // 00000000288C: 7E8C0280
	v_mov_b32_e32 v71, 0                                       // 000000002890: 7E8E0280
	v_mov_b32_e32 v72, 0                                       // 000000002894: 7E900280
	v_mov_b32_e32 v73, 0                                       // 000000002898: 7E920280
	s_mov_b32 s40, s34                                         // 00000000289C: BEA80022
	s_mov_b32 s39, 0                                           // 0000000028A0: BEA70080
	s_waitcnt vmcnt(24)                                        // 0000000028A4: BF8C4F78
	s_barrier                                                  // 0000000028A8: BF8A0000
	ds_read_b128 a[48:51], v34                                 // 0000000028AC: DBFE0000 30000022
	ds_read_b128 a[52:55], v34 offset:64                       // 0000000028B4: DBFE0040 34000022
	ds_read_b128 a[56:59], v34 offset:512                      // 0000000028BC: DBFE0200 38000022
	ds_read_b128 a[60:63], v34 offset:576                      // 0000000028C4: DBFE0240 3C000022
	ds_read_b128 a[64:67], v34 offset:1024                     // 0000000028CC: DBFE0400 40000022
	ds_read_b128 a[68:71], v34 offset:1088                     // 0000000028D4: DBFE0440 44000022
	ds_read_b128 a[72:75], v34 offset:1536                     // 0000000028DC: DBFE0600 48000022
	ds_read_b128 a[76:79], v34 offset:1600                     // 0000000028E4: DBFE0640 4C000022
	s_mov_b32 s47, 0                                           // 0000000028EC: BEAF0080
	s_mov_b32 s48, 1.0                                         // 0000000028F0: BEB000F2
	s_cmp_eq_u32 s47, s75                                      // 0000000028F4: BF064B2F
	s_cselect_b32 s47, s48, 0                                  // 0000000028F8: 852F8030
	v_mul_f32_e64 v112, v112, s47                              // 0000000028FC: D1050070 00005F70
	v_mul_f32_e64 v113, v113, s47                              // 000000002904: D1050071 00005F71
	v_mul_f32_e64 v114, v114, s47                              // 00000000290C: D1050072 00005F72
	v_mul_f32_e64 v115, v115, s47                              // 000000002914: D1050073 00005F73
	v_mul_f32_e64 v116, v116, s47                              // 00000000291C: D1050074 00005F74
	v_mul_f32_e64 v117, v117, s47                              // 000000002924: D1050075 00005F75
	v_mul_f32_e64 v118, v118, s47                              // 00000000292C: D1050076 00005F76
	v_mul_f32_e64 v119, v119, s47                              // 000000002934: D1050077 00005F77
	v_and_b32_e64 v16, v0, 15                                  // 00000000293C: D1130010 00011F00
	v_mul_lo_u32 v16, v16, s37                                 // 000000002944: D2850010 00004B10
	v_lshrrev_b32_e32 v4, 4, v0                                // 00000000294C: 20080084
	v_mul_i32_i24_e32 v4, 8, v4                                // 000000002950: 0C080888
	v_add_u32_e32 v16, v4, v16                                 // 000000002954: 68202104
	s_mul_i32 s47, 32, s44                                     // 000000002958: 922F2CA0
	s_mul_i32 s47, 2, s47                                      // 00000000295C: 922F2F82
	v_add_u32_e32 v16, s47, v16                                // 000000002960: 6820202F
	s_mul_i32 s47, 16, s37                                     // 000000002964: 922F2590
	v_add_u32_e32 v17, s47, v16                                // 000000002968: 6822202F
	v_add_u32_e32 v18, s47, v17                                // 00000000296C: 6824222F
	v_add_u32_e32 v19, s47, v18                                // 000000002970: 6826242F
	s_mul_i32 s47, s44, s37                                    // 000000002974: 922F252C
	v_lshlrev_b32_e32 v5, 2, v0                                // 000000002978: 240A0082
	v_add_u32_e32 v20, s47, v5                                 // 00000000297C: 68280A2F
	s_mul_i32 s47, s42, 64                                     // 000000002980: 922FC02A
	s_add_i32 s77, s47, s44                                    // 000000002984: 814D2C2F
	s_cmp_lt_i32 s39, s40                                      // 000000002988: BF042827
	s_cbranch_scc0 label_05A1                                  // 00000000298C: BF84033D

0000000000002990 <label_0264>:
	s_waitcnt vmcnt(12) lgkmcnt(0)                             // 000000002990: BF8C007C
	s_barrier                                                  // 000000002994: BF8A0000
	v_mfma_i32_16x16x32_i8 v[42:45], a[0:1], a[48:49], v[42:45]// 000000002998: D3D7002A 1CAA6100
	s_add_u32 m0, 0, s53                                       // 0000000029A0: 807C3580
	buffer_load_dword v26, s[4:7], 0 offen lds                 // 0000000029A4: E0511000 8001001A
	v_mfma_i32_16x16x32_i8 v[42:45], a[2:3], a[50:51], v[42:45]// 0000000029AC: D3D7002A 1CAA6502
	ds_read_b128 a[80:83], v34 offset:8320                     // 0000000029B4: DBFE2080 50000022
	v_mfma_i32_16x16x32_i8 v[42:45], a[4:5], a[52:53], v[42:45]// 0000000029BC: D3D7002A 1CAA6904
	s_add_u32 m0, 0x100, s53                                   // 0000000029C4: 807C35FF 00000100
	buffer_load_dword v27, s[4:7], 0 offen lds                 // 0000000029CC: E0511000 8001001B
	v_mfma_i32_16x16x32_i8 v[42:45], a[6:7], a[54:55], v[42:45]// 0000000029D4: D3D7002A 1CAA6D06
	ds_read_b128 a[84:87], v34 offset:8384                     // 0000000029DC: DBFE20C0 54000022
	v_mfma_i32_16x16x32_i8 v[46:49], a[8:9], a[48:49], v[46:49]// 0000000029E4: D3D7002E 1CBA6108
	buffer_load_dwordx4 a[32:35], v36, s[8:11], 0 offen        // 0000000029EC: E05C1000 80822024
	v_mfma_i32_16x16x32_i8 v[46:49], a[10:11], a[50:51], v[46:49]// 0000000029F4: D3D7002E 1CBA650A
	v_mfma_i32_16x16x32_i8 v[46:49], a[12:13], a[52:53], v[46:49]// 0000000029FC: D3D7002E 1CBA690C
	buffer_load_dwordx4 a[36:39], v37, s[8:11], 0 offen        // 000000002A04: E05C1000 80822425
	v_mfma_i32_16x16x32_i8 v[46:49], a[14:15], a[54:55], v[46:49]// 000000002A0C: D3D7002E 1CBA6D0E
	v_mfma_i32_16x16x32_i8 v[50:53], a[0:1], a[56:57], v[50:53]// 000000002A14: D3D70032 1CCA7100
	s_add_u32 m0, 0x200, s53                                   // 000000002A1C: 807C35FF 00000200
	buffer_load_dword v28, s[4:7], 0 offen lds                 // 000000002A24: E0511000 8001001C
	v_mfma_i32_16x16x32_i8 v[50:53], a[2:3], a[58:59], v[50:53]// 000000002A2C: D3D70032 1CCA7502
	ds_read_b128 a[88:91], v34 offset:8832                     // 000000002A34: DBFE2280 58000022
	v_mfma_i32_16x16x32_i8 v[50:53], a[4:5], a[60:61], v[50:53]// 000000002A3C: D3D70032 1CCA7904
	s_add_u32 m0, 0x300, s53                                   // 000000002A44: 807C35FF 00000300
	buffer_load_dword v29, s[4:7], 0 offen lds                 // 000000002A4C: E0511000 8001001D
	v_mfma_i32_16x16x32_i8 v[50:53], a[6:7], a[62:63], v[50:53]// 000000002A54: D3D70032 1CCA7D06
	ds_read_b128 a[92:95], v34 offset:8896                     // 000000002A5C: DBFE22C0 5C000022
	v_mfma_i32_16x16x32_i8 v[54:57], a[8:9], a[56:57], v[54:57]// 000000002A64: D3D70036 1CDA7108
	buffer_load_dwordx4 a[40:43], v38, s[8:11], 0 offen        // 000000002A6C: E05C1000 80822826
	v_mfma_i32_16x16x32_i8 v[54:57], a[10:11], a[58:59], v[54:57]// 000000002A74: D3D70036 1CDA750A
	v_mfma_i32_16x16x32_i8 v[54:57], a[12:13], a[60:61], v[54:57]// 000000002A7C: D3D70036 1CDA790C
	buffer_load_dwordx4 a[44:47], v39, s[8:11], 0 offen        // 000000002A84: E05C1000 80822C27
	v_mfma_i32_16x16x32_i8 v[54:57], a[14:15], a[62:63], v[54:57]// 000000002A8C: D3D70036 1CDA7D0E
	v_mfma_i32_16x16x32_i8 v[58:61], a[0:1], a[64:65], v[58:61]// 000000002A94: D3D7003A 1CEA8100
	s_add_u32 m0, 0x400, s53                                   // 000000002A9C: 807C35FF 00000400
	buffer_load_dword v30, s[4:7], 0 offen lds                 // 000000002AA4: E0511000 8001001E
	v_mfma_i32_16x16x32_i8 v[58:61], a[2:3], a[66:67], v[58:61]// 000000002AAC: D3D7003A 1CEA8502
	ds_read_b128 a[96:99], v34 offset:9344                     // 000000002AB4: DBFE2480 60000022
	v_mfma_i32_16x16x32_i8 v[58:61], a[4:5], a[68:69], v[58:61]// 000000002ABC: D3D7003A 1CEA8904
	s_add_u32 m0, 0x500, s53                                   // 000000002AC4: 807C35FF 00000500
	buffer_load_dword v31, s[4:7], 0 offen lds                 // 000000002ACC: E0511000 8001001F
	v_mfma_i32_16x16x32_i8 v[58:61], a[6:7], a[70:71], v[58:61]// 000000002AD4: D3D7003A 1CEA8D06
	ds_read_b128 a[100:103], v34 offset:9408                   // 000000002ADC: DBFE24C0 64000022
	v_mfma_i32_16x16x32_i8 v[62:65], a[8:9], a[64:65], v[62:65]// 000000002AE4: D3D7003E 1CFA8108
	v_mfma_i32_16x16x32_i8 v[62:65], a[10:11], a[66:67], v[62:65]// 000000002AEC: D3D7003E 1CFA850A
	v_mfma_i32_16x16x32_i8 v[62:65], a[12:13], a[68:69], v[62:65]// 000000002AF4: D3D7003E 1CFA890C
	v_mfma_i32_16x16x32_i8 v[62:65], a[14:15], a[70:71], v[62:65]// 000000002AFC: D3D7003E 1CFA8D0E
	v_mfma_i32_16x16x32_i8 v[66:69], a[0:1], a[72:73], v[66:69]// 000000002B04: D3D70042 1D0A9100
	s_add_u32 m0, 0x600, s53                                   // 000000002B0C: 807C35FF 00000600
	buffer_load_dword v32, s[4:7], 0 offen lds                 // 000000002B14: E0511000 80010020
	v_mfma_i32_16x16x32_i8 v[66:69], a[2:3], a[74:75], v[66:69]// 000000002B1C: D3D70042 1D0A9502
	ds_read_b128 a[104:107], v34 offset:9856                   // 000000002B24: DBFE2680 68000022
	v_mfma_i32_16x16x32_i8 v[66:69], a[4:5], a[76:77], v[66:69]// 000000002B2C: D3D70042 1D0A9904
	s_add_u32 m0, 0x700, s53                                   // 000000002B34: 807C35FF 00000700
	buffer_load_dword v33, s[4:7], 0 offen lds                 // 000000002B3C: E0511000 80010021
	v_mfma_i32_16x16x32_i8 v[66:69], a[6:7], a[78:79], v[66:69]// 000000002B44: D3D70042 1D0A9D06
	ds_read_b128 a[108:111], v34 offset:9920                   // 000000002B4C: DBFE26C0 6C000022
	v_mfma_i32_16x16x32_i8 v[70:73], a[8:9], a[72:73], v[70:73]// 000000002B54: D3D70046 1D1A9108
	v_mfma_i32_16x16x32_i8 v[70:73], a[10:11], a[74:75], v[70:73]// 000000002B5C: D3D70046 1D1A950A
	s_add_u32 s47, 0x200, s39                                  // 000000002B64: 802F27FF 00000200
	s_cmp_lt_u32 s47, s40                                      // 000000002B6C: BF0A282F
	s_cselect_b32 s51, s51, 0                                  // 000000002B70: 85338033
	s_add_u32 s47, 0x180, s39                                  // 000000002B74: 802F27FF 00000180
	s_cmp_lt_u32 s47, s40                                      // 000000002B7C: BF0A282F
	s_cselect_b32 s52, s52, 0                                  // 000000002B80: 85348034
	v_mfma_i32_16x16x32_i8 v[70:73], a[12:13], a[76:77], v[70:73]// 000000002B84: D3D70046 1D1A990C
	v_mfma_i32_16x16x32_i8 v[70:73], a[14:15], a[78:79], v[70:73]// 000000002B8C: D3D70046 1D1A9D0E
	s_add_u32 s4, s51, s4                                      // 000000002B94: 80040433
	s_addc_u32 s5, 0, s5                                       // 000000002B98: 82050580
	s_sub_u32 s6, s6, s51                                      // 000000002B9C: 80863306
	s_add_u32 s8, s52, s8                                      // 000000002BA0: 80080834
	s_addc_u32 s9, 0, s9                                       // 000000002BA4: 82090980
	s_sub_u32 s10, s10, s52                                    // 000000002BA8: 808A340A
	s_addk_i32 s39, 0x80                                       // 000000002BAC: B7270080
	s_cmp_lt_i32 s39, s40                                      // 000000002BB0: BF042827
	s_cbranch_scc0 label_05A1                                  // 000000002BB4: BF8402B3
	s_waitcnt vmcnt(12) lgkmcnt(0)                             // 000000002BB8: BF8C007C
	s_barrier                                                  // 000000002BBC: BF8A0000
	v_mfma_i32_16x16x32_i8 v[42:45], a[16:17], a[80:81], v[42:45]// 000000002BC0: D3D7002A 1CAAA110
	s_add_u32 m0, 0, s54                                       // 000000002BC8: 807C3680
	buffer_load_dword v26, s[4:7], 0 offen lds                 // 000000002BCC: E0511000 8001001A
	v_mfma_i32_16x16x32_i8 v[42:45], a[18:19], a[82:83], v[42:45]// 000000002BD4: D3D7002A 1CAAA512
	ds_read_b128 a[48:51], v34 offset:16640                    // 000000002BDC: DBFE4100 30000022
	v_mfma_i32_16x16x32_i8 v[42:45], a[20:21], a[84:85], v[42:45]// 000000002BE4: D3D7002A 1CAAA914
	s_add_u32 m0, 0x100, s54                                   // 000000002BEC: 807C36FF 00000100
	buffer_load_dword v27, s[4:7], 0 offen lds                 // 000000002BF4: E0511000 8001001B
	v_mfma_i32_16x16x32_i8 v[42:45], a[22:23], a[86:87], v[42:45]// 000000002BFC: D3D7002A 1CAAAD16
	ds_read_b128 a[52:55], v34 offset:16704                    // 000000002C04: DBFE4140 34000022
	v_mfma_i32_16x16x32_i8 v[46:49], a[24:25], a[80:81], v[46:49]// 000000002C0C: D3D7002E 1CBAA118
	buffer_load_dwordx4 a[0:3], v36, s[8:11], 0 offen          // 000000002C14: E05C1000 80820024
	v_mfma_i32_16x16x32_i8 v[46:49], a[26:27], a[82:83], v[46:49]// 000000002C1C: D3D7002E 1CBAA51A
	v_mfma_i32_16x16x32_i8 v[46:49], a[28:29], a[84:85], v[46:49]// 000000002C24: D3D7002E 1CBAA91C
	buffer_load_dwordx4 a[4:7], v37, s[8:11], 0 offen          // 000000002C2C: E05C1000 80820425
	v_mfma_i32_16x16x32_i8 v[46:49], a[30:31], a[86:87], v[46:49]// 000000002C34: D3D7002E 1CBAAD1E
	v_mfma_i32_16x16x32_i8 v[50:53], a[16:17], a[88:89], v[50:53]// 000000002C3C: D3D70032 1CCAB110
	s_add_u32 m0, 0x200, s54                                   // 000000002C44: 807C36FF 00000200
	buffer_load_dword v28, s[4:7], 0 offen lds                 // 000000002C4C: E0511000 8001001C
	v_mfma_i32_16x16x32_i8 v[50:53], a[18:19], a[90:91], v[50:53]// 000000002C54: D3D70032 1CCAB512
	ds_read_b128 a[56:59], v34 offset:17152                    // 000000002C5C: DBFE4300 38000022
	v_mfma_i32_16x16x32_i8 v[50:53], a[20:21], a[92:93], v[50:53]// 000000002C64: D3D70032 1CCAB914
	s_add_u32 m0, 0x300, s54                                   // 000000002C6C: 807C36FF 00000300
	buffer_load_dword v29, s[4:7], 0 offen lds                 // 000000002C74: E0511000 8001001D
	v_mfma_i32_16x16x32_i8 v[50:53], a[22:23], a[94:95], v[50:53]// 000000002C7C: D3D70032 1CCABD16
	ds_read_b128 a[60:63], v34 offset:17216                    // 000000002C84: DBFE4340 3C000022
	v_mfma_i32_16x16x32_i8 v[54:57], a[24:25], a[88:89], v[54:57]// 000000002C8C: D3D70036 1CDAB118
	buffer_load_dwordx4 a[8:11], v38, s[8:11], 0 offen         // 000000002C94: E05C1000 80820826
	v_mfma_i32_16x16x32_i8 v[54:57], a[26:27], a[90:91], v[54:57]// 000000002C9C: D3D70036 1CDAB51A
	v_mfma_i32_16x16x32_i8 v[54:57], a[28:29], a[92:93], v[54:57]// 000000002CA4: D3D70036 1CDAB91C
	buffer_load_dwordx4 a[12:15], v39, s[8:11], 0 offen        // 000000002CAC: E05C1000 80820C27
	v_mfma_i32_16x16x32_i8 v[54:57], a[30:31], a[94:95], v[54:57]// 000000002CB4: D3D70036 1CDABD1E
	v_mfma_i32_16x16x32_i8 v[58:61], a[16:17], a[96:97], v[58:61]// 000000002CBC: D3D7003A 1CEAC110
	s_add_u32 m0, 0x400, s54                                   // 000000002CC4: 807C36FF 00000400
	buffer_load_dword v30, s[4:7], 0 offen lds                 // 000000002CCC: E0511000 8001001E
	v_mfma_i32_16x16x32_i8 v[58:61], a[18:19], a[98:99], v[58:61]// 000000002CD4: D3D7003A 1CEAC512
	ds_read_b128 a[64:67], v34 offset:17664                    // 000000002CDC: DBFE4500 40000022
	v_mfma_i32_16x16x32_i8 v[58:61], a[20:21], a[100:101], v[58:61]// 000000002CE4: D3D7003A 1CEAC914
	s_add_u32 m0, 0x500, s54                                   // 000000002CEC: 807C36FF 00000500
	buffer_load_dword v31, s[4:7], 0 offen lds                 // 000000002CF4: E0511000 8001001F
	v_mfma_i32_16x16x32_i8 v[58:61], a[22:23], a[102:103], v[58:61]// 000000002CFC: D3D7003A 1CEACD16
	ds_read_b128 a[68:71], v34 offset:17728                    // 000000002D04: DBFE4540 44000022
	v_mfma_i32_16x16x32_i8 v[62:65], a[24:25], a[96:97], v[62:65]// 000000002D0C: D3D7003E 1CFAC118
	v_mfma_i32_16x16x32_i8 v[62:65], a[26:27], a[98:99], v[62:65]// 000000002D14: D3D7003E 1CFAC51A
	v_mfma_i32_16x16x32_i8 v[62:65], a[28:29], a[100:101], v[62:65]// 000000002D1C: D3D7003E 1CFAC91C
	v_mfma_i32_16x16x32_i8 v[62:65], a[30:31], a[102:103], v[62:65]// 000000002D24: D3D7003E 1CFACD1E
	v_mfma_i32_16x16x32_i8 v[66:69], a[16:17], a[104:105], v[66:69]// 000000002D2C: D3D70042 1D0AD110
	s_add_u32 m0, 0x600, s54                                   // 000000002D34: 807C36FF 00000600
	buffer_load_dword v32, s[4:7], 0 offen lds                 // 000000002D3C: E0511000 80010020
	v_mfma_i32_16x16x32_i8 v[66:69], a[18:19], a[106:107], v[66:69]// 000000002D44: D3D70042 1D0AD512
	ds_read_b128 a[72:75], v34 offset:18176                    // 000000002D4C: DBFE4700 48000022
	v_mfma_i32_16x16x32_i8 v[66:69], a[20:21], a[108:109], v[66:69]// 000000002D54: D3D70042 1D0AD914
	s_add_u32 m0, 0x700, s54                                   // 000000002D5C: 807C36FF 00000700
	buffer_load_dword v33, s[4:7], 0 offen lds                 // 000000002D64: E0511000 80010021
	v_mfma_i32_16x16x32_i8 v[66:69], a[22:23], a[110:111], v[66:69]// 000000002D6C: D3D70042 1D0ADD16
	ds_read_b128 a[76:79], v34 offset:18240                    // 000000002D74: DBFE4740 4C000022
	v_mfma_i32_16x16x32_i8 v[70:73], a[24:25], a[104:105], v[70:73]// 000000002D7C: D3D70046 1D1AD118
	v_mfma_i32_16x16x32_i8 v[70:73], a[26:27], a[106:107], v[70:73]// 000000002D84: D3D70046 1D1AD51A
	s_add_u32 s47, 0x200, s39                                  // 000000002D8C: 802F27FF 00000200
	s_cmp_lt_u32 s47, s40                                      // 000000002D94: BF0A282F
	s_cselect_b32 s51, s51, 0                                  // 000000002D98: 85338033
	s_add_u32 s47, 0x180, s39                                  // 000000002D9C: 802F27FF 00000180
	s_cmp_lt_u32 s47, s40                                      // 000000002DA4: BF0A282F
	s_cselect_b32 s52, s52, 0                                  // 000000002DA8: 85348034
	v_mfma_i32_16x16x32_i8 v[70:73], a[28:29], a[108:109], v[70:73]// 000000002DAC: D3D70046 1D1AD91C
	v_mfma_i32_16x16x32_i8 v[70:73], a[30:31], a[110:111], v[70:73]// 000000002DB4: D3D70046 1D1ADD1E
	s_add_u32 s4, s51, s4                                      // 000000002DBC: 80040433
	s_addc_u32 s5, 0, s5                                       // 000000002DC0: 82050580
	s_sub_u32 s6, s6, s51                                      // 000000002DC4: 80863306
	s_add_u32 s8, s52, s8                                      // 000000002DC8: 80080834
	s_addc_u32 s9, 0, s9                                       // 000000002DCC: 82090980
	s_sub_u32 s10, s10, s52                                    // 000000002DD0: 808A340A
	s_addk_i32 s39, 0x80                                       // 000000002DD4: B7270080
	s_cmp_lt_i32 s39, s40                                      // 000000002DD8: BF042827
	s_cbranch_scc0 label_05A1                                  // 000000002DDC: BF840229
	s_waitcnt vmcnt(12) lgkmcnt(0)                             // 000000002DE0: BF8C007C
	s_barrier                                                  // 000000002DE4: BF8A0000
	v_mfma_i32_16x16x32_i8 v[42:45], a[32:33], a[48:49], v[42:45]// 000000002DE8: D3D7002A 1CAA6120
	s_add_u32 m0, 0, s55                                       // 000000002DF0: 807C3780
	buffer_load_dword v26, s[4:7], 0 offen lds                 // 000000002DF4: E0511000 8001001A
	v_mfma_i32_16x16x32_i8 v[42:45], a[34:35], a[50:51], v[42:45]// 000000002DFC: D3D7002A 1CAA6522
	ds_read_b128 a[80:83], v34                                 // 000000002E04: DBFE0000 50000022
	v_mfma_i32_16x16x32_i8 v[42:45], a[36:37], a[52:53], v[42:45]// 000000002E0C: D3D7002A 1CAA6924
	s_add_u32 m0, 0x100, s55                                   // 000000002E14: 807C37FF 00000100
	buffer_load_dword v27, s[4:7], 0 offen lds                 // 000000002E1C: E0511000 8001001B
	v_mfma_i32_16x16x32_i8 v[42:45], a[38:39], a[54:55], v[42:45]// 000000002E24: D3D7002A 1CAA6D26
	ds_read_b128 a[84:87], v34 offset:64                       // 000000002E2C: DBFE0040 54000022
	v_mfma_i32_16x16x32_i8 v[46:49], a[40:41], a[48:49], v[46:49]// 000000002E34: D3D7002E 1CBA6128
	buffer_load_dwordx4 a[16:19], v36, s[8:11], 0 offen        // 000000002E3C: E05C1000 80821024
	v_mfma_i32_16x16x32_i8 v[46:49], a[42:43], a[50:51], v[46:49]// 000000002E44: D3D7002E 1CBA652A
	v_mfma_i32_16x16x32_i8 v[46:49], a[44:45], a[52:53], v[46:49]// 000000002E4C: D3D7002E 1CBA692C
	buffer_load_dwordx4 a[20:23], v37, s[8:11], 0 offen        // 000000002E54: E05C1000 80821425
	v_mfma_i32_16x16x32_i8 v[46:49], a[46:47], a[54:55], v[46:49]// 000000002E5C: D3D7002E 1CBA6D2E
	v_mfma_i32_16x16x32_i8 v[50:53], a[32:33], a[56:57], v[50:53]// 000000002E64: D3D70032 1CCA7120
	s_add_u32 m0, 0x200, s55                                   // 000000002E6C: 807C37FF 00000200
	buffer_load_dword v28, s[4:7], 0 offen lds                 // 000000002E74: E0511000 8001001C
	v_mfma_i32_16x16x32_i8 v[50:53], a[34:35], a[58:59], v[50:53]// 000000002E7C: D3D70032 1CCA7522
	ds_read_b128 a[88:91], v34 offset:512                      // 000000002E84: DBFE0200 58000022
	v_mfma_i32_16x16x32_i8 v[50:53], a[36:37], a[60:61], v[50:53]// 000000002E8C: D3D70032 1CCA7924
	s_add_u32 m0, 0x300, s55                                   // 000000002E94: 807C37FF 00000300
	buffer_load_dword v29, s[4:7], 0 offen lds                 // 000000002E9C: E0511000 8001001D
	v_mfma_i32_16x16x32_i8 v[50:53], a[38:39], a[62:63], v[50:53]// 000000002EA4: D3D70032 1CCA7D26
	ds_read_b128 a[92:95], v34 offset:576                      // 000000002EAC: DBFE0240 5C000022
	v_mfma_i32_16x16x32_i8 v[54:57], a[40:41], a[56:57], v[54:57]// 000000002EB4: D3D70036 1CDA7128
	buffer_load_dwordx4 a[24:27], v38, s[8:11], 0 offen        // 000000002EBC: E05C1000 80821826
	v_mfma_i32_16x16x32_i8 v[54:57], a[42:43], a[58:59], v[54:57]// 000000002EC4: D3D70036 1CDA752A
	v_mfma_i32_16x16x32_i8 v[54:57], a[44:45], a[60:61], v[54:57]// 000000002ECC: D3D70036 1CDA792C
	buffer_load_dwordx4 a[28:31], v39, s[8:11], 0 offen        // 000000002ED4: E05C1000 80821C27
	v_mfma_i32_16x16x32_i8 v[54:57], a[46:47], a[62:63], v[54:57]// 000000002EDC: D3D70036 1CDA7D2E
	v_mfma_i32_16x16x32_i8 v[58:61], a[32:33], a[64:65], v[58:61]// 000000002EE4: D3D7003A 1CEA8120
	s_add_u32 m0, 0x400, s55                                   // 000000002EEC: 807C37FF 00000400
	buffer_load_dword v30, s[4:7], 0 offen lds                 // 000000002EF4: E0511000 8001001E
	v_mfma_i32_16x16x32_i8 v[58:61], a[34:35], a[66:67], v[58:61]// 000000002EFC: D3D7003A 1CEA8522
	ds_read_b128 a[96:99], v34 offset:1024                     // 000000002F04: DBFE0400 60000022
	v_mfma_i32_16x16x32_i8 v[58:61], a[36:37], a[68:69], v[58:61]// 000000002F0C: D3D7003A 1CEA8924
	s_add_u32 m0, 0x500, s55                                   // 000000002F14: 807C37FF 00000500
	buffer_load_dword v31, s[4:7], 0 offen lds                 // 000000002F1C: E0511000 8001001F
	v_mfma_i32_16x16x32_i8 v[58:61], a[38:39], a[70:71], v[58:61]// 000000002F24: D3D7003A 1CEA8D26
	ds_read_b128 a[100:103], v34 offset:1088                   // 000000002F2C: DBFE0440 64000022
	v_mfma_i32_16x16x32_i8 v[62:65], a[40:41], a[64:65], v[62:65]// 000000002F34: D3D7003E 1CFA8128
	v_mfma_i32_16x16x32_i8 v[62:65], a[42:43], a[66:67], v[62:65]// 000000002F3C: D3D7003E 1CFA852A
	v_mfma_i32_16x16x32_i8 v[62:65], a[44:45], a[68:69], v[62:65]// 000000002F44: D3D7003E 1CFA892C
	v_mfma_i32_16x16x32_i8 v[62:65], a[46:47], a[70:71], v[62:65]// 000000002F4C: D3D7003E 1CFA8D2E
	v_mfma_i32_16x16x32_i8 v[66:69], a[32:33], a[72:73], v[66:69]// 000000002F54: D3D70042 1D0A9120
	s_add_u32 m0, 0x600, s55                                   // 000000002F5C: 807C37FF 00000600
	buffer_load_dword v32, s[4:7], 0 offen lds                 // 000000002F64: E0511000 80010020
	v_mfma_i32_16x16x32_i8 v[66:69], a[34:35], a[74:75], v[66:69]// 000000002F6C: D3D70042 1D0A9522
	ds_read_b128 a[104:107], v34 offset:1536                   // 000000002F74: DBFE0600 68000022
	v_mfma_i32_16x16x32_i8 v[66:69], a[36:37], a[76:77], v[66:69]// 000000002F7C: D3D70042 1D0A9924
	s_add_u32 m0, 0x700, s55                                   // 000000002F84: 807C37FF 00000700
	buffer_load_dword v33, s[4:7], 0 offen lds                 // 000000002F8C: E0511000 80010021
	v_mfma_i32_16x16x32_i8 v[66:69], a[38:39], a[78:79], v[66:69]// 000000002F94: D3D70042 1D0A9D26
	ds_read_b128 a[108:111], v34 offset:1600                   // 000000002F9C: DBFE0640 6C000022
	v_mfma_i32_16x16x32_i8 v[70:73], a[40:41], a[72:73], v[70:73]// 000000002FA4: D3D70046 1D1A9128
	v_mfma_i32_16x16x32_i8 v[70:73], a[42:43], a[74:75], v[70:73]// 000000002FAC: D3D70046 1D1A952A
	s_add_u32 s47, 0x200, s39                                  // 000000002FB4: 802F27FF 00000200
	s_cmp_lt_u32 s47, s40                                      // 000000002FBC: BF0A282F
	s_cselect_b32 s51, s51, 0                                  // 000000002FC0: 85338033
	s_add_u32 s47, 0x180, s39                                  // 000000002FC4: 802F27FF 00000180
	s_cmp_lt_u32 s47, s40                                      // 000000002FCC: BF0A282F
	s_cselect_b32 s52, s52, 0                                  // 000000002FD0: 85348034
	v_mfma_i32_16x16x32_i8 v[70:73], a[44:45], a[76:77], v[70:73]// 000000002FD4: D3D70046 1D1A992C
	v_mfma_i32_16x16x32_i8 v[70:73], a[46:47], a[78:79], v[70:73]// 000000002FDC: D3D70046 1D1A9D2E
	s_add_u32 s4, s51, s4                                      // 000000002FE4: 80040433
	s_addc_u32 s5, 0, s5                                       // 000000002FE8: 82050580
	s_sub_u32 s6, s6, s51                                      // 000000002FEC: 80863306
	s_add_u32 s8, s52, s8                                      // 000000002FF0: 80080834
	s_addc_u32 s9, 0, s9                                       // 000000002FF4: 82090980
	s_sub_u32 s10, s10, s52                                    // 000000002FF8: 808A340A
	s_addk_i32 s39, 0x80                                       // 000000002FFC: B7270080
	s_cmp_lt_i32 s39, s40                                      // 000000003000: BF042827
	s_cbranch_scc0 label_05A1                                  // 000000003004: BF84019F
	s_waitcnt vmcnt(12) lgkmcnt(0)                             // 000000003008: BF8C007C
	s_barrier                                                  // 00000000300C: BF8A0000
	v_mfma_i32_16x16x32_i8 v[42:45], a[0:1], a[80:81], v[42:45]// 000000003010: D3D7002A 1CAAA100
	s_add_u32 m0, 0, s53                                       // 000000003018: 807C3580
	buffer_load_dword v26, s[4:7], 0 offen lds                 // 00000000301C: E0511000 8001001A
	v_mfma_i32_16x16x32_i8 v[42:45], a[2:3], a[82:83], v[42:45]// 000000003024: D3D7002A 1CAAA502
	ds_read_b128 a[48:51], v34 offset:8320                     // 00000000302C: DBFE2080 30000022
	v_mfma_i32_16x16x32_i8 v[42:45], a[4:5], a[84:85], v[42:45]// 000000003034: D3D7002A 1CAAA904
	s_add_u32 m0, 0x100, s53                                   // 00000000303C: 807C35FF 00000100
	buffer_load_dword v27, s[4:7], 0 offen lds                 // 000000003044: E0511000 8001001B
	v_mfma_i32_16x16x32_i8 v[42:45], a[6:7], a[86:87], v[42:45]// 00000000304C: D3D7002A 1CAAAD06
	ds_read_b128 a[52:55], v34 offset:8384                     // 000000003054: DBFE20C0 34000022
	v_mfma_i32_16x16x32_i8 v[46:49], a[8:9], a[80:81], v[46:49]// 00000000305C: D3D7002E 1CBAA108
	buffer_load_dwordx4 a[32:35], v36, s[8:11], 0 offen        // 000000003064: E05C1000 80822024
	v_mfma_i32_16x16x32_i8 v[46:49], a[10:11], a[82:83], v[46:49]// 00000000306C: D3D7002E 1CBAA50A
	v_mfma_i32_16x16x32_i8 v[46:49], a[12:13], a[84:85], v[46:49]// 000000003074: D3D7002E 1CBAA90C
	buffer_load_dwordx4 a[36:39], v37, s[8:11], 0 offen        // 00000000307C: E05C1000 80822425
	v_mfma_i32_16x16x32_i8 v[46:49], a[14:15], a[86:87], v[46:49]// 000000003084: D3D7002E 1CBAAD0E
	v_mfma_i32_16x16x32_i8 v[50:53], a[0:1], a[88:89], v[50:53]// 00000000308C: D3D70032 1CCAB100
	s_add_u32 m0, 0x200, s53                                   // 000000003094: 807C35FF 00000200
	buffer_load_dword v28, s[4:7], 0 offen lds                 // 00000000309C: E0511000 8001001C
	v_mfma_i32_16x16x32_i8 v[50:53], a[2:3], a[90:91], v[50:53]// 0000000030A4: D3D70032 1CCAB502
	ds_read_b128 a[56:59], v34 offset:8832                     // 0000000030AC: DBFE2280 38000022
	v_mfma_i32_16x16x32_i8 v[50:53], a[4:5], a[92:93], v[50:53]// 0000000030B4: D3D70032 1CCAB904
	s_add_u32 m0, 0x300, s53                                   // 0000000030BC: 807C35FF 00000300
	buffer_load_dword v29, s[4:7], 0 offen lds                 // 0000000030C4: E0511000 8001001D
	v_mfma_i32_16x16x32_i8 v[50:53], a[6:7], a[94:95], v[50:53]// 0000000030CC: D3D70032 1CCABD06
	ds_read_b128 a[60:63], v34 offset:8896                     // 0000000030D4: DBFE22C0 3C000022
	v_mfma_i32_16x16x32_i8 v[54:57], a[8:9], a[88:89], v[54:57]// 0000000030DC: D3D70036 1CDAB108
	buffer_load_dwordx4 a[40:43], v38, s[8:11], 0 offen        // 0000000030E4: E05C1000 80822826
	v_mfma_i32_16x16x32_i8 v[54:57], a[10:11], a[90:91], v[54:57]// 0000000030EC: D3D70036 1CDAB50A
	v_mfma_i32_16x16x32_i8 v[54:57], a[12:13], a[92:93], v[54:57]// 0000000030F4: D3D70036 1CDAB90C
	buffer_load_dwordx4 a[44:47], v39, s[8:11], 0 offen        // 0000000030FC: E05C1000 80822C27
	v_mfma_i32_16x16x32_i8 v[54:57], a[14:15], a[94:95], v[54:57]// 000000003104: D3D70036 1CDABD0E
	v_mfma_i32_16x16x32_i8 v[58:61], a[0:1], a[96:97], v[58:61]// 00000000310C: D3D7003A 1CEAC100
	s_add_u32 m0, 0x400, s53                                   // 000000003114: 807C35FF 00000400
	buffer_load_dword v30, s[4:7], 0 offen lds                 // 00000000311C: E0511000 8001001E
	v_mfma_i32_16x16x32_i8 v[58:61], a[2:3], a[98:99], v[58:61]// 000000003124: D3D7003A 1CEAC502
	ds_read_b128 a[64:67], v34 offset:9344                     // 00000000312C: DBFE2480 40000022
	v_mfma_i32_16x16x32_i8 v[58:61], a[4:5], a[100:101], v[58:61]// 000000003134: D3D7003A 1CEAC904
	s_add_u32 m0, 0x500, s53                                   // 00000000313C: 807C35FF 00000500
	buffer_load_dword v31, s[4:7], 0 offen lds                 // 000000003144: E0511000 8001001F
	v_mfma_i32_16x16x32_i8 v[58:61], a[6:7], a[102:103], v[58:61]// 00000000314C: D3D7003A 1CEACD06
	ds_read_b128 a[68:71], v34 offset:9408                     // 000000003154: DBFE24C0 44000022
	v_mfma_i32_16x16x32_i8 v[62:65], a[8:9], a[96:97], v[62:65]// 00000000315C: D3D7003E 1CFAC108
	v_mfma_i32_16x16x32_i8 v[62:65], a[10:11], a[98:99], v[62:65]// 000000003164: D3D7003E 1CFAC50A
	v_mfma_i32_16x16x32_i8 v[62:65], a[12:13], a[100:101], v[62:65]// 00000000316C: D3D7003E 1CFAC90C
	v_mfma_i32_16x16x32_i8 v[62:65], a[14:15], a[102:103], v[62:65]// 000000003174: D3D7003E 1CFACD0E
	v_mfma_i32_16x16x32_i8 v[66:69], a[0:1], a[104:105], v[66:69]// 00000000317C: D3D70042 1D0AD100
	s_add_u32 m0, 0x600, s53                                   // 000000003184: 807C35FF 00000600
	buffer_load_dword v32, s[4:7], 0 offen lds                 // 00000000318C: E0511000 80010020
	v_mfma_i32_16x16x32_i8 v[66:69], a[2:3], a[106:107], v[66:69]// 000000003194: D3D70042 1D0AD502
	ds_read_b128 a[72:75], v34 offset:9856                     // 00000000319C: DBFE2680 48000022
	v_mfma_i32_16x16x32_i8 v[66:69], a[4:5], a[108:109], v[66:69]// 0000000031A4: D3D70042 1D0AD904
	s_add_u32 m0, 0x700, s53                                   // 0000000031AC: 807C35FF 00000700
	buffer_load_dword v33, s[4:7], 0 offen lds                 // 0000000031B4: E0511000 80010021
	v_mfma_i32_16x16x32_i8 v[66:69], a[6:7], a[110:111], v[66:69]// 0000000031BC: D3D70042 1D0ADD06
	ds_read_b128 a[76:79], v34 offset:9920                     // 0000000031C4: DBFE26C0 4C000022
	v_mfma_i32_16x16x32_i8 v[70:73], a[8:9], a[104:105], v[70:73]// 0000000031CC: D3D70046 1D1AD108
	v_mfma_i32_16x16x32_i8 v[70:73], a[10:11], a[106:107], v[70:73]// 0000000031D4: D3D70046 1D1AD50A
	s_add_u32 s47, 0x200, s39                                  // 0000000031DC: 802F27FF 00000200
	s_cmp_lt_u32 s47, s40                                      // 0000000031E4: BF0A282F
	s_cselect_b32 s51, s51, 0                                  // 0000000031E8: 85338033
	s_add_u32 s47, 0x180, s39                                  // 0000000031EC: 802F27FF 00000180
	s_cmp_lt_u32 s47, s40                                      // 0000000031F4: BF0A282F
	s_cselect_b32 s52, s52, 0                                  // 0000000031F8: 85348034
	v_mfma_i32_16x16x32_i8 v[70:73], a[12:13], a[108:109], v[70:73]// 0000000031FC: D3D70046 1D1AD90C
	v_mfma_i32_16x16x32_i8 v[70:73], a[14:15], a[110:111], v[70:73]// 000000003204: D3D70046 1D1ADD0E
	s_add_u32 s4, s51, s4                                      // 00000000320C: 80040433
	s_addc_u32 s5, 0, s5                                       // 000000003210: 82050580
	s_sub_u32 s6, s6, s51                                      // 000000003214: 80863306
	s_add_u32 s8, s52, s8                                      // 000000003218: 80080834
	s_addc_u32 s9, 0, s9                                       // 00000000321C: 82090980
	s_sub_u32 s10, s10, s52                                    // 000000003220: 808A340A
	s_addk_i32 s39, 0x80                                       // 000000003224: B7270080
	s_cmp_lt_i32 s39, s40                                      // 000000003228: BF042827
	s_cbranch_scc0 label_05A1                                  // 00000000322C: BF840115
	s_waitcnt vmcnt(12) lgkmcnt(0)                             // 000000003230: BF8C007C
	s_barrier                                                  // 000000003234: BF8A0000
	v_mfma_i32_16x16x32_i8 v[42:45], a[16:17], a[48:49], v[42:45]// 000000003238: D3D7002A 1CAA6110
	s_add_u32 m0, 0, s54                                       // 000000003240: 807C3680
	buffer_load_dword v26, s[4:7], 0 offen lds                 // 000000003244: E0511000 8001001A
	v_mfma_i32_16x16x32_i8 v[42:45], a[18:19], a[50:51], v[42:45]// 00000000324C: D3D7002A 1CAA6512
	ds_read_b128 a[80:83], v34 offset:16640                    // 000000003254: DBFE4100 50000022
	v_mfma_i32_16x16x32_i8 v[42:45], a[20:21], a[52:53], v[42:45]// 00000000325C: D3D7002A 1CAA6914
	s_add_u32 m0, 0x100, s54                                   // 000000003264: 807C36FF 00000100
	buffer_load_dword v27, s[4:7], 0 offen lds                 // 00000000326C: E0511000 8001001B
	v_mfma_i32_16x16x32_i8 v[42:45], a[22:23], a[54:55], v[42:45]// 000000003274: D3D7002A 1CAA6D16
	ds_read_b128 a[84:87], v34 offset:16704                    // 00000000327C: DBFE4140 54000022
	v_mfma_i32_16x16x32_i8 v[46:49], a[24:25], a[48:49], v[46:49]// 000000003284: D3D7002E 1CBA6118
	buffer_load_dwordx4 a[0:3], v36, s[8:11], 0 offen          // 00000000328C: E05C1000 80820024
	v_mfma_i32_16x16x32_i8 v[46:49], a[26:27], a[50:51], v[46:49]// 000000003294: D3D7002E 1CBA651A
	v_mfma_i32_16x16x32_i8 v[46:49], a[28:29], a[52:53], v[46:49]// 00000000329C: D3D7002E 1CBA691C
	buffer_load_dwordx4 a[4:7], v37, s[8:11], 0 offen          // 0000000032A4: E05C1000 80820425
	v_mfma_i32_16x16x32_i8 v[46:49], a[30:31], a[54:55], v[46:49]// 0000000032AC: D3D7002E 1CBA6D1E
	v_mfma_i32_16x16x32_i8 v[50:53], a[16:17], a[56:57], v[50:53]// 0000000032B4: D3D70032 1CCA7110
	s_add_u32 m0, 0x200, s54                                   // 0000000032BC: 807C36FF 00000200
	buffer_load_dword v28, s[4:7], 0 offen lds                 // 0000000032C4: E0511000 8001001C
	v_mfma_i32_16x16x32_i8 v[50:53], a[18:19], a[58:59], v[50:53]// 0000000032CC: D3D70032 1CCA7512
	ds_read_b128 a[88:91], v34 offset:17152                    // 0000000032D4: DBFE4300 58000022
	v_mfma_i32_16x16x32_i8 v[50:53], a[20:21], a[60:61], v[50:53]// 0000000032DC: D3D70032 1CCA7914
	s_add_u32 m0, 0x300, s54                                   // 0000000032E4: 807C36FF 00000300
	buffer_load_dword v29, s[4:7], 0 offen lds                 // 0000000032EC: E0511000 8001001D
	v_mfma_i32_16x16x32_i8 v[50:53], a[22:23], a[62:63], v[50:53]// 0000000032F4: D3D70032 1CCA7D16
	ds_read_b128 a[92:95], v34 offset:17216                    // 0000000032FC: DBFE4340 5C000022
	v_mfma_i32_16x16x32_i8 v[54:57], a[24:25], a[56:57], v[54:57]// 000000003304: D3D70036 1CDA7118
	buffer_load_dwordx4 a[8:11], v38, s[8:11], 0 offen         // 00000000330C: E05C1000 80820826
	v_mfma_i32_16x16x32_i8 v[54:57], a[26:27], a[58:59], v[54:57]// 000000003314: D3D70036 1CDA751A
	v_mfma_i32_16x16x32_i8 v[54:57], a[28:29], a[60:61], v[54:57]// 00000000331C: D3D70036 1CDA791C
	buffer_load_dwordx4 a[12:15], v39, s[8:11], 0 offen        // 000000003324: E05C1000 80820C27
	v_mfma_i32_16x16x32_i8 v[54:57], a[30:31], a[62:63], v[54:57]// 00000000332C: D3D70036 1CDA7D1E
	v_mfma_i32_16x16x32_i8 v[58:61], a[16:17], a[64:65], v[58:61]// 000000003334: D3D7003A 1CEA8110
	s_add_u32 m0, 0x400, s54                                   // 00000000333C: 807C36FF 00000400
	buffer_load_dword v30, s[4:7], 0 offen lds                 // 000000003344: E0511000 8001001E
	v_mfma_i32_16x16x32_i8 v[58:61], a[18:19], a[66:67], v[58:61]// 00000000334C: D3D7003A 1CEA8512
	ds_read_b128 a[96:99], v34 offset:17664                    // 000000003354: DBFE4500 60000022
	v_mfma_i32_16x16x32_i8 v[58:61], a[20:21], a[68:69], v[58:61]// 00000000335C: D3D7003A 1CEA8914
	s_add_u32 m0, 0x500, s54                                   // 000000003364: 807C36FF 00000500
	buffer_load_dword v31, s[4:7], 0 offen lds                 // 00000000336C: E0511000 8001001F
	v_mfma_i32_16x16x32_i8 v[58:61], a[22:23], a[70:71], v[58:61]// 000000003374: D3D7003A 1CEA8D16
	ds_read_b128 a[100:103], v34 offset:17728                  // 00000000337C: DBFE4540 64000022
	v_mfma_i32_16x16x32_i8 v[62:65], a[24:25], a[64:65], v[62:65]// 000000003384: D3D7003E 1CFA8118
	v_mfma_i32_16x16x32_i8 v[62:65], a[26:27], a[66:67], v[62:65]// 00000000338C: D3D7003E 1CFA851A
	v_mfma_i32_16x16x32_i8 v[62:65], a[28:29], a[68:69], v[62:65]// 000000003394: D3D7003E 1CFA891C
	v_mfma_i32_16x16x32_i8 v[62:65], a[30:31], a[70:71], v[62:65]// 00000000339C: D3D7003E 1CFA8D1E
	v_mfma_i32_16x16x32_i8 v[66:69], a[16:17], a[72:73], v[66:69]// 0000000033A4: D3D70042 1D0A9110
	s_add_u32 m0, 0x600, s54                                   // 0000000033AC: 807C36FF 00000600
	buffer_load_dword v32, s[4:7], 0 offen lds                 // 0000000033B4: E0511000 80010020
	v_mfma_i32_16x16x32_i8 v[66:69], a[18:19], a[74:75], v[66:69]// 0000000033BC: D3D70042 1D0A9512
	ds_read_b128 a[104:107], v34 offset:18176                  // 0000000033C4: DBFE4700 68000022
	v_mfma_i32_16x16x32_i8 v[66:69], a[20:21], a[76:77], v[66:69]// 0000000033CC: D3D70042 1D0A9914
	s_add_u32 m0, 0x700, s54                                   // 0000000033D4: 807C36FF 00000700
	buffer_load_dword v33, s[4:7], 0 offen lds                 // 0000000033DC: E0511000 80010021
	v_mfma_i32_16x16x32_i8 v[66:69], a[22:23], a[78:79], v[66:69]// 0000000033E4: D3D70042 1D0A9D16
	ds_read_b128 a[108:111], v34 offset:18240                  // 0000000033EC: DBFE4740 6C000022
	v_mfma_i32_16x16x32_i8 v[70:73], a[24:25], a[72:73], v[70:73]// 0000000033F4: D3D70046 1D1A9118
	v_mfma_i32_16x16x32_i8 v[70:73], a[26:27], a[74:75], v[70:73]// 0000000033FC: D3D70046 1D1A951A
	s_add_u32 s47, 0x200, s39                                  // 000000003404: 802F27FF 00000200
	s_cmp_lt_u32 s47, s40                                      // 00000000340C: BF0A282F
	s_cselect_b32 s51, s51, 0                                  // 000000003410: 85338033
	s_add_u32 s47, 0x180, s39                                  // 000000003414: 802F27FF 00000180
	s_cmp_lt_u32 s47, s40                                      // 00000000341C: BF0A282F
	s_cselect_b32 s52, s52, 0                                  // 000000003420: 85348034
	v_mfma_i32_16x16x32_i8 v[70:73], a[28:29], a[76:77], v[70:73]// 000000003424: D3D70046 1D1A991C
	v_mfma_i32_16x16x32_i8 v[70:73], a[30:31], a[78:79], v[70:73]// 00000000342C: D3D70046 1D1A9D1E
	s_add_u32 s4, s51, s4                                      // 000000003434: 80040433
	s_addc_u32 s5, 0, s5                                       // 000000003438: 82050580
	s_sub_u32 s6, s6, s51                                      // 00000000343C: 80863306
	s_add_u32 s8, s52, s8                                      // 000000003440: 80080834
	s_addc_u32 s9, 0, s9                                       // 000000003444: 82090980
	s_sub_u32 s10, s10, s52                                    // 000000003448: 808A340A
	s_addk_i32 s39, 0x80                                       // 00000000344C: B7270080
	s_cmp_lt_i32 s39, s40                                      // 000000003450: BF042827
	s_cbranch_scc0 label_05A1                                  // 000000003454: BF84008B
	s_waitcnt vmcnt(12) lgkmcnt(0)                             // 000000003458: BF8C007C
	s_barrier                                                  // 00000000345C: BF8A0000
	v_mfma_i32_16x16x32_i8 v[42:45], a[32:33], a[80:81], v[42:45]// 000000003460: D3D7002A 1CAAA120
	s_add_u32 m0, 0, s55                                       // 000000003468: 807C3780
	buffer_load_dword v26, s[4:7], 0 offen lds                 // 00000000346C: E0511000 8001001A
	v_mfma_i32_16x16x32_i8 v[42:45], a[34:35], a[82:83], v[42:45]// 000000003474: D3D7002A 1CAAA522
	ds_read_b128 a[48:51], v34                                 // 00000000347C: DBFE0000 30000022
	v_mfma_i32_16x16x32_i8 v[42:45], a[36:37], a[84:85], v[42:45]// 000000003484: D3D7002A 1CAAA924
	s_add_u32 m0, 0x100, s55                                   // 00000000348C: 807C37FF 00000100
	buffer_load_dword v27, s[4:7], 0 offen lds                 // 000000003494: E0511000 8001001B
	v_mfma_i32_16x16x32_i8 v[42:45], a[38:39], a[86:87], v[42:45]// 00000000349C: D3D7002A 1CAAAD26
	ds_read_b128 a[52:55], v34 offset:64                       // 0000000034A4: DBFE0040 34000022
	v_mfma_i32_16x16x32_i8 v[46:49], a[40:41], a[80:81], v[46:49]// 0000000034AC: D3D7002E 1CBAA128
	buffer_load_dwordx4 a[16:19], v36, s[8:11], 0 offen        // 0000000034B4: E05C1000 80821024
	v_mfma_i32_16x16x32_i8 v[46:49], a[42:43], a[82:83], v[46:49]// 0000000034BC: D3D7002E 1CBAA52A
	v_mfma_i32_16x16x32_i8 v[46:49], a[44:45], a[84:85], v[46:49]// 0000000034C4: D3D7002E 1CBAA92C
	buffer_load_dwordx4 a[20:23], v37, s[8:11], 0 offen        // 0000000034CC: E05C1000 80821425
	v_mfma_i32_16x16x32_i8 v[46:49], a[46:47], a[86:87], v[46:49]// 0000000034D4: D3D7002E 1CBAAD2E
	v_mfma_i32_16x16x32_i8 v[50:53], a[32:33], a[88:89], v[50:53]// 0000000034DC: D3D70032 1CCAB120
	s_add_u32 m0, 0x200, s55                                   // 0000000034E4: 807C37FF 00000200
	buffer_load_dword v28, s[4:7], 0 offen lds                 // 0000000034EC: E0511000 8001001C
	v_mfma_i32_16x16x32_i8 v[50:53], a[34:35], a[90:91], v[50:53]// 0000000034F4: D3D70032 1CCAB522
	ds_read_b128 a[56:59], v34 offset:512                      // 0000000034FC: DBFE0200 38000022
	v_mfma_i32_16x16x32_i8 v[50:53], a[36:37], a[92:93], v[50:53]// 000000003504: D3D70032 1CCAB924
	s_add_u32 m0, 0x300, s55                                   // 00000000350C: 807C37FF 00000300
	buffer_load_dword v29, s[4:7], 0 offen lds                 // 000000003514: E0511000 8001001D
	v_mfma_i32_16x16x32_i8 v[50:53], a[38:39], a[94:95], v[50:53]// 00000000351C: D3D70032 1CCABD26
	ds_read_b128 a[60:63], v34 offset:576                      // 000000003524: DBFE0240 3C000022
	v_mfma_i32_16x16x32_i8 v[54:57], a[40:41], a[88:89], v[54:57]// 00000000352C: D3D70036 1CDAB128
	buffer_load_dwordx4 a[24:27], v38, s[8:11], 0 offen        // 000000003534: E05C1000 80821826
	v_mfma_i32_16x16x32_i8 v[54:57], a[42:43], a[90:91], v[54:57]// 00000000353C: D3D70036 1CDAB52A
	v_mfma_i32_16x16x32_i8 v[54:57], a[44:45], a[92:93], v[54:57]// 000000003544: D3D70036 1CDAB92C
	buffer_load_dwordx4 a[28:31], v39, s[8:11], 0 offen        // 00000000354C: E05C1000 80821C27
	v_mfma_i32_16x16x32_i8 v[54:57], a[46:47], a[94:95], v[54:57]// 000000003554: D3D70036 1CDABD2E
	v_mfma_i32_16x16x32_i8 v[58:61], a[32:33], a[96:97], v[58:61]// 00000000355C: D3D7003A 1CEAC120
	s_add_u32 m0, 0x400, s55                                   // 000000003564: 807C37FF 00000400
	buffer_load_dword v30, s[4:7], 0 offen lds                 // 00000000356C: E0511000 8001001E
	v_mfma_i32_16x16x32_i8 v[58:61], a[34:35], a[98:99], v[58:61]// 000000003574: D3D7003A 1CEAC522
	ds_read_b128 a[64:67], v34 offset:1024                     // 00000000357C: DBFE0400 40000022
	v_mfma_i32_16x16x32_i8 v[58:61], a[36:37], a[100:101], v[58:61]// 000000003584: D3D7003A 1CEAC924
	s_add_u32 m0, 0x500, s55                                   // 00000000358C: 807C37FF 00000500
	buffer_load_dword v31, s[4:7], 0 offen lds                 // 000000003594: E0511000 8001001F
	v_mfma_i32_16x16x32_i8 v[58:61], a[38:39], a[102:103], v[58:61]// 00000000359C: D3D7003A 1CEACD26
	ds_read_b128 a[68:71], v34 offset:1088                     // 0000000035A4: DBFE0440 44000022
	v_mfma_i32_16x16x32_i8 v[62:65], a[40:41], a[96:97], v[62:65]// 0000000035AC: D3D7003E 1CFAC128
	v_mfma_i32_16x16x32_i8 v[62:65], a[42:43], a[98:99], v[62:65]// 0000000035B4: D3D7003E 1CFAC52A
	v_mfma_i32_16x16x32_i8 v[62:65], a[44:45], a[100:101], v[62:65]// 0000000035BC: D3D7003E 1CFAC92C
	v_mfma_i32_16x16x32_i8 v[62:65], a[46:47], a[102:103], v[62:65]// 0000000035C4: D3D7003E 1CFACD2E
	v_mfma_i32_16x16x32_i8 v[66:69], a[32:33], a[104:105], v[66:69]// 0000000035CC: D3D70042 1D0AD120
	s_add_u32 m0, 0x600, s55                                   // 0000000035D4: 807C37FF 00000600
	buffer_load_dword v32, s[4:7], 0 offen lds                 // 0000000035DC: E0511000 80010020
	v_mfma_i32_16x16x32_i8 v[66:69], a[34:35], a[106:107], v[66:69]// 0000000035E4: D3D70042 1D0AD522
	ds_read_b128 a[72:75], v34 offset:1536                     // 0000000035EC: DBFE0600 48000022
	v_mfma_i32_16x16x32_i8 v[66:69], a[36:37], a[108:109], v[66:69]// 0000000035F4: D3D70042 1D0AD924
	s_add_u32 m0, 0x700, s55                                   // 0000000035FC: 807C37FF 00000700
	buffer_load_dword v33, s[4:7], 0 offen lds                 // 000000003604: E0511000 80010021
	v_mfma_i32_16x16x32_i8 v[66:69], a[38:39], a[110:111], v[66:69]// 00000000360C: D3D70042 1D0ADD26
	ds_read_b128 a[76:79], v34 offset:1600                     // 000000003614: DBFE0640 4C000022
	v_mfma_i32_16x16x32_i8 v[70:73], a[40:41], a[104:105], v[70:73]// 00000000361C: D3D70046 1D1AD128
	v_mfma_i32_16x16x32_i8 v[70:73], a[42:43], a[106:107], v[70:73]// 000000003624: D3D70046 1D1AD52A
	s_add_u32 s47, 0x200, s39                                  // 00000000362C: 802F27FF 00000200
	s_cmp_lt_u32 s47, s40                                      // 000000003634: BF0A282F
	s_cselect_b32 s51, s51, 0                                  // 000000003638: 85338033
	s_add_u32 s47, 0x180, s39                                  // 00000000363C: 802F27FF 00000180
	s_cmp_lt_u32 s47, s40                                      // 000000003644: BF0A282F
	s_cselect_b32 s52, s52, 0                                  // 000000003648: 85348034
	v_mfma_i32_16x16x32_i8 v[70:73], a[44:45], a[108:109], v[70:73]// 00000000364C: D3D70046 1D1AD92C
	v_mfma_i32_16x16x32_i8 v[70:73], a[46:47], a[110:111], v[70:73]// 000000003654: D3D70046 1D1ADD2E
	s_add_u32 s4, s51, s4                                      // 00000000365C: 80040433
	s_addc_u32 s5, 0, s5                                       // 000000003660: 82050580
	s_sub_u32 s6, s6, s51                                      // 000000003664: 80863306
	s_add_u32 s8, s52, s8                                      // 000000003668: 80080834
	s_addc_u32 s9, 0, s9                                       // 00000000366C: 82090980
	s_sub_u32 s10, s10, s52                                    // 000000003670: 808A340A
	s_addk_i32 s39, 0x80                                       // 000000003674: B7270080
	s_cmp_lt_i32 s39, s40                                      // 000000003678: BF042827
	s_cbranch_scc0 label_05A1                                  // 00000000367C: BF840001
	s_branch label_0264                                        // 000000003680: BF82FCC3

0000000000003684 <label_05A1>:
	s_cmp_eq_u32 s38, 1                                        // 000000003684: BF068126
	s_cbranch_scc1 label_0707                                  // 000000003688: BF850164
	v_cvt_f32_i32_e32 v42, v42                                 // 00000000368C: 7E540B2A
	v_cvt_f32_i32_e32 v43, v43                                 // 000000003690: 7E560B2B
	v_pk_mul_f32 v[42:43], v[42:43], v[98:99]                  // 000000003694: D3B1402A 1802C52A
	v_fma_f32 v42, v42, v90, v112                              // 00000000369C: D1CB002A 05C2B52A
	v_fma_f32 v43, v43, v90, v113                              // 0000000036A4: D1CB002B 05C6B52B
	v_perm_b32 v74, v43, v42, s45                              // 0000000036AC: D1ED004A 00B6552B
	v_cvt_f32_i32_e32 v44, v44                                 // 0000000036B4: 7E580B2C
	v_cvt_f32_i32_e32 v45, v45                                 // 0000000036B8: 7E5A0B2D
	v_pk_mul_f32 v[44:45], v[44:45], v[100:101]                // 0000000036BC: D3B1402C 1802C92C
	v_fma_f32 v44, v44, v90, v114                              // 0000000036C4: D1CB002C 05CAB52C
	v_fma_f32 v45, v45, v90, v115                              // 0000000036CC: D1CB002D 05CEB52D
	v_perm_b32 v75, v45, v44, s45                              // 0000000036D4: D1ED004B 00B6592D
	v_cvt_f32_i32_e32 v46, v46                                 // 0000000036DC: 7E5C0B2E
	v_cvt_f32_i32_e32 v47, v47                                 // 0000000036E0: 7E5E0B2F
	v_pk_mul_f32 v[46:47], v[46:47], v[102:103]                // 0000000036E4: D3B1402E 1802CD2E
	v_fma_f32 v46, v46, v90, v116                              // 0000000036EC: D1CB002E 05D2B52E
	v_fma_f32 v47, v47, v90, v117                              // 0000000036F4: D1CB002F 05D6B52F
	v_perm_b32 v76, v47, v46, s45                              // 0000000036FC: D1ED004C 00B65D2F
	v_cvt_f32_i32_e32 v48, v48                                 // 000000003704: 7E600B30
	v_cvt_f32_i32_e32 v49, v49                                 // 000000003708: 7E620B31
	v_pk_mul_f32 v[48:49], v[48:49], v[104:105]                // 00000000370C: D3B14030 1802D130
	v_fma_f32 v48, v48, v90, v118                              // 000000003714: D1CB0030 05DAB530
	v_fma_f32 v49, v49, v90, v119                              // 00000000371C: D1CB0031 05DEB531
	v_perm_b32 v77, v49, v48, s45                              // 000000003724: D1ED004D 00B66131
	v_cvt_f32_i32_e32 v50, v50                                 // 00000000372C: 7E640B32
	v_cvt_f32_i32_e32 v51, v51                                 // 000000003730: 7E660B33
	v_pk_mul_f32 v[50:51], v[50:51], v[98:99]                  // 000000003734: D3B14032 1802C532
	v_fma_f32 v50, v50, v91, v112                              // 00000000373C: D1CB0032 05C2B732
	v_fma_f32 v51, v51, v91, v113                              // 000000003744: D1CB0033 05C6B733
	v_perm_b32 v78, v51, v50, s45                              // 00000000374C: D1ED004E 00B66533
	v_cvt_f32_i32_e32 v52, v52                                 // 000000003754: 7E680B34
	v_cvt_f32_i32_e32 v53, v53                                 // 000000003758: 7E6A0B35
	v_pk_mul_f32 v[52:53], v[52:53], v[100:101]                // 00000000375C: D3B14034 1802C934
	v_fma_f32 v52, v52, v91, v114                              // 000000003764: D1CB0034 05CAB734
	v_fma_f32 v53, v53, v91, v115                              // 00000000376C: D1CB0035 05CEB735
	v_perm_b32 v79, v53, v52, s45                              // 000000003774: D1ED004F 00B66935
	v_cvt_f32_i32_e32 v54, v54                                 // 00000000377C: 7E6C0B36
	v_cvt_f32_i32_e32 v55, v55                                 // 000000003780: 7E6E0B37
	v_pk_mul_f32 v[54:55], v[54:55], v[102:103]                // 000000003784: D3B14036 1802CD36
	v_fma_f32 v54, v54, v91, v116                              // 00000000378C: D1CB0036 05D2B736
	v_fma_f32 v55, v55, v91, v117                              // 000000003794: D1CB0037 05D6B737
	v_perm_b32 v80, v55, v54, s45                              // 00000000379C: D1ED0050 00B66D37
	v_cvt_f32_i32_e32 v56, v56                                 // 0000000037A4: 7E700B38
	v_cvt_f32_i32_e32 v57, v57                                 // 0000000037A8: 7E720B39
	v_pk_mul_f32 v[56:57], v[56:57], v[104:105]                // 0000000037AC: D3B14038 1802D138
	v_fma_f32 v56, v56, v91, v118                              // 0000000037B4: D1CB0038 05DAB738
	v_fma_f32 v57, v57, v91, v119                              // 0000000037BC: D1CB0039 05DEB739
	v_perm_b32 v81, v57, v56, s45                              // 0000000037C4: D1ED0051 00B67139
	v_cvt_f32_i32_e32 v58, v58                                 // 0000000037CC: 7E740B3A
	v_cvt_f32_i32_e32 v59, v59                                 // 0000000037D0: 7E760B3B
	v_pk_mul_f32 v[58:59], v[58:59], v[98:99]                  // 0000000037D4: D3B1403A 1802C53A
	v_fma_f32 v58, v58, v92, v112                              // 0000000037DC: D1CB003A 05C2B93A
	v_fma_f32 v59, v59, v92, v113                              // 0000000037E4: D1CB003B 05C6B93B
	v_perm_b32 v82, v59, v58, s45                              // 0000000037EC: D1ED0052 00B6753B
	v_cvt_f32_i32_e32 v60, v60                                 // 0000000037F4: 7E780B3C
	v_cvt_f32_i32_e32 v61, v61                                 // 0000000037F8: 7E7A0B3D
	v_pk_mul_f32 v[60:61], v[60:61], v[100:101]                // 0000000037FC: D3B1403C 1802C93C
	v_fma_f32 v60, v60, v92, v114                              // 000000003804: D1CB003C 05CAB93C
	v_fma_f32 v61, v61, v92, v115                              // 00000000380C: D1CB003D 05CEB93D
	v_perm_b32 v83, v61, v60, s45                              // 000000003814: D1ED0053 00B6793D
	v_cvt_f32_i32_e32 v62, v62                                 // 00000000381C: 7E7C0B3E
	v_cvt_f32_i32_e32 v63, v63                                 // 000000003820: 7E7E0B3F
	v_pk_mul_f32 v[62:63], v[62:63], v[102:103]                // 000000003824: D3B1403E 1802CD3E
	v_fma_f32 v62, v62, v92, v116                              // 00000000382C: D1CB003E 05D2B93E
	v_fma_f32 v63, v63, v92, v117                              // 000000003834: D1CB003F 05D6B93F
	v_perm_b32 v84, v63, v62, s45                              // 00000000383C: D1ED0054 00B67D3F
	v_cvt_f32_i32_e32 v64, v64                                 // 000000003844: 7E800B40
	v_cvt_f32_i32_e32 v65, v65                                 // 000000003848: 7E820B41
	v_pk_mul_f32 v[64:65], v[64:65], v[104:105]                // 00000000384C: D3B14040 1802D140
	v_fma_f32 v64, v64, v92, v118                              // 000000003854: D1CB0040 05DAB940
	v_fma_f32 v65, v65, v92, v119                              // 00000000385C: D1CB0041 05DEB941
	v_perm_b32 v85, v65, v64, s45                              // 000000003864: D1ED0055 00B68141
	v_cvt_f32_i32_e32 v66, v66                                 // 00000000386C: 7E840B42
	v_cvt_f32_i32_e32 v67, v67                                 // 000000003870: 7E860B43
	v_pk_mul_f32 v[66:67], v[66:67], v[98:99]                  // 000000003874: D3B14042 1802C542
	v_fma_f32 v66, v66, v93, v112                              // 00000000387C: D1CB0042 05C2BB42
	v_fma_f32 v67, v67, v93, v113                              // 000000003884: D1CB0043 05C6BB43
	v_perm_b32 v86, v67, v66, s45                              // 00000000388C: D1ED0056 00B68543
	v_cvt_f32_i32_e32 v68, v68                                 // 000000003894: 7E880B44
	v_cvt_f32_i32_e32 v69, v69                                 // 000000003898: 7E8A0B45
	v_pk_mul_f32 v[68:69], v[68:69], v[100:101]                // 00000000389C: D3B14044 1802C944
	v_fma_f32 v68, v68, v93, v114                              // 0000000038A4: D1CB0044 05CABB44
	v_fma_f32 v69, v69, v93, v115                              // 0000000038AC: D1CB0045 05CEBB45
	v_perm_b32 v87, v69, v68, s45                              // 0000000038B4: D1ED0057 00B68945
	v_cvt_f32_i32_e32 v70, v70                                 // 0000000038BC: 7E8C0B46
	v_cvt_f32_i32_e32 v71, v71                                 // 0000000038C0: 7E8E0B47
	v_pk_mul_f32 v[70:71], v[70:71], v[102:103]                // 0000000038C4: D3B14046 1802CD46
	v_fma_f32 v70, v70, v93, v116                              // 0000000038CC: D1CB0046 05D2BB46
	v_fma_f32 v71, v71, v93, v117                              // 0000000038D4: D1CB0047 05D6BB47
	v_perm_b32 v88, v71, v70, s45                              // 0000000038DC: D1ED0058 00B68D47
	v_cvt_f32_i32_e32 v72, v72                                 // 0000000038E4: 7E900B48
	v_cvt_f32_i32_e32 v73, v73                                 // 0000000038E8: 7E920B49
	v_pk_mul_f32 v[72:73], v[72:73], v[104:105]                // 0000000038EC: D3B14048 1802D148
	v_fma_f32 v72, v72, v93, v118                              // 0000000038F4: D1CB0048 05DABB48
	v_fma_f32 v73, v73, v93, v119                              // 0000000038FC: D1CB0049 05DEBB49
	v_perm_b32 v89, v73, v72, s45                              // 000000003904: D1ED0059 00B69149
	v_lshrrev_b32_e32 v4, 4, v0                                // 00000000390C: 20080084
	v_mul_u32_u24_e32 v34, 34, v4                              // 000000003910: 104408A2
	v_and_b32_e32 v4, 15, v0                                   // 000000003914: 2608008F
	v_mul_lo_u32 v5, 2, v4                                     // 000000003918: D2850005 00020882
	v_add_u32_e32 v34, v5, v34                                 // 000000003920: 68444505
	s_mul_i32 s47, s44, 0x110                                  // 000000003924: 922FFF2C 00000110
	v_add_u32_e32 v34, s47, v34                                // 00000000392C: 6844442F
	v_lshlrev_b32_e32 v34, 2, v34                              // 000000003930: 24444482
	v_lshrrev_b32_e32 v4, 1, v0                                // 000000003934: 20080081
	v_mul_u32_u24_e32 v40, 34, v4                              // 000000003938: 105008A2
	v_and_b32_e32 v5, 1, v0                                    // 00000000393C: 260A0081
	v_add_u32_e32 v40, v5, v40                                 // 000000003940: 68505105
	s_mul_i32 s47, s44, 2                                      // 000000003944: 922F822C
	v_add_u32_e32 v40, s47, v40                                // 000000003948: 6850502F
	v_lshlrev_b32_e32 v40, 2, v40                              // 00000000394C: 24505082
	s_waitcnt vmcnt(0) expcnt(0) lgkmcnt(0)                    // 000000003950: BF8C0000
	s_barrier                                                  // 000000003954: BF8A0000
	ds_write_b64 v34, v[74:75]                                 // 000000003958: D89A0000 00004A22
	ds_write_b64 v34, v[76:77] offset:544                      // 000000003960: D89A0220 00004C22
	ds_write_b64 v34, v[78:79] offset:4352                     // 000000003968: D89A1100 00004E22
	ds_write_b64 v34, v[80:81] offset:4896                     // 000000003970: D89A1320 00005022
	ds_write_b64 v34, v[82:83] offset:8704                     // 000000003978: D89A2200 00005222
	ds_write_b64 v34, v[84:85] offset:9248                     // 000000003980: D89A2420 00005422
	ds_write_b64 v34, v[86:87] offset:13056                    // 000000003988: D89A3300 00005622
	ds_write_b64 v34, v[88:89] offset:13600                    // 000000003990: D89A3520 00005822
	s_waitcnt lgkmcnt(0)                                       // 000000003998: BF8CC07F
	s_barrier                                                  // 00000000399C: BF8A0000
	ds_read_b32 v74, v40                                       // 0000000039A0: D86C0000 4A000028
	ds_read_b32 v75, v40 offset:32                             // 0000000039A8: D86C0020 4B000028
	ds_read_b32 v76, v40 offset:64                             // 0000000039B0: D86C0040 4C000028
	ds_read_b32 v77, v40 offset:96                             // 0000000039B8: D86C0060 4D000028
	ds_read_b32 v78, v40 offset:4352                           // 0000000039C0: D86C1100 4E000028
	ds_read_b32 v79, v40 offset:4384                           // 0000000039C8: D86C1120 4F000028
	ds_read_b32 v80, v40 offset:4416                           // 0000000039D0: D86C1140 50000028
	ds_read_b32 v81, v40 offset:4448                           // 0000000039D8: D86C1160 51000028
	ds_read_b32 v82, v40 offset:8704                           // 0000000039E0: D86C2200 52000028
	ds_read_b32 v83, v40 offset:8736                           // 0000000039E8: D86C2220 53000028
	ds_read_b32 v84, v40 offset:8768                           // 0000000039F0: D86C2240 54000028
	ds_read_b32 v85, v40 offset:8800                           // 0000000039F8: D86C2260 55000028
	ds_read_b32 v86, v40 offset:13056                          // 000000003A00: D86C3300 56000028
	ds_read_b32 v87, v40 offset:13088                          // 000000003A08: D86C3320 57000028
	ds_read_b32 v88, v40 offset:13120                          // 000000003A10: D86C3340 58000028
	ds_read_b32 v89, v40 offset:13152                          // 000000003A18: D86C3360 59000028
	s_waitcnt lgkmcnt(0)                                       // 000000003A20: BF8CC07F
	s_barrier                                                  // 000000003A24: BF8A0000
	s_mul_i32 s47, s37, 4                                      // 000000003A28: 922F8425
	s_mul_i32 s48, s37, 8                                      // 000000003A2C: 92308825
	s_mul_i32 s49, s37, 16                                     // 000000003A30: 92319025
	v_mov_b32_e32 v4, v20                                      // 000000003A34: 7E080314
	v_mov_b32_e32 v5, 0                                        // 000000003A38: 7E0A0280
	v_mov_b32_e32 v7, 0                                        // 000000003A3C: 7E0E0280
	v_mov_b32_e32 v9, 0                                        // 000000003A40: 7E120280
	v_mov_b32_e32 v11, 0                                       // 000000003A44: 7E160280
	v_mov_b32_e32 v6, v4                                       // 000000003A48: 7E0C0304
	v_add_u32_e64 v10, v4, s48                                 // 000000003A4C: D134000A 00006104
	s_cmp_ge_u32 s77, s32                                      // 000000003A54: BF09204D
	s_cbranch_scc1 label_07B7                                  // 000000003A58: BF850120
	global_atomic_pk_add_bf16 v6, v74, s[80:81]                // 000000003A5C: DD488000 00504A06
	v_add_u32_e64 v8, v6, s47                                  // 000000003A64: D1340008 00005F06
	s_add_i32 s77, s77, 4                                      // 000000003A6C: 814D844D
	s_cmp_ge_u32 s77, s32                                      // 000000003A70: BF09204D
	s_cbranch_scc1 label_07B7                                  // 000000003A74: BF850119
	global_atomic_pk_add_bf16 v8, v75, s[80:81]                // 000000003A78: DD488000 00504B08
	s_add_i32 s77, s77, 4                                      // 000000003A80: 814D844D
	s_cmp_ge_u32 s77, s32                                      // 000000003A84: BF09204D
	s_cbranch_scc1 label_07B7                                  // 000000003A88: BF850114
	global_atomic_pk_add_bf16 v10, v76, s[80:81]               // 000000003A8C: DD488000 00504C0A
	v_add_u32_e64 v12, v10, s47                                // 000000003A94: D134000C 00005F0A
	s_add_i32 s77, s77, 4                                      // 000000003A9C: 814D844D
	s_cmp_ge_u32 s77, s32                                      // 000000003AA0: BF09204D
	s_cbranch_scc1 label_07B7                                  // 000000003AA4: BF85010D
	global_atomic_pk_add_bf16 v12, v77, s[80:81]               // 000000003AA8: DD488000 00504D0C
	s_add_i32 s77, s77, 4                                      // 000000003AB0: 814D844D
	v_add_u32_e64 v4, v4, s49                                  // 000000003AB4: D1340004 00006304
	v_mov_b32_e32 v6, v4                                       // 000000003ABC: 7E0C0304
	v_add_u32_e64 v10, v4, s48                                 // 000000003AC0: D134000A 00006104
	s_cmp_ge_u32 s77, s32                                      // 000000003AC8: BF09204D
	s_cbranch_scc1 label_07B7                                  // 000000003ACC: BF850103
	global_atomic_pk_add_bf16 v6, v78, s[80:81]                // 000000003AD0: DD488000 00504E06
	v_add_u32_e64 v8, v6, s47                                  // 000000003AD8: D1340008 00005F06
	s_add_i32 s77, s77, 4                                      // 000000003AE0: 814D844D
	s_cmp_ge_u32 s77, s32                                      // 000000003AE4: BF09204D
	s_cbranch_scc1 label_07B7                                  // 000000003AE8: BF8500FC
	global_atomic_pk_add_bf16 v8, v79, s[80:81]                // 000000003AEC: DD488000 00504F08
	s_add_i32 s77, s77, 4                                      // 000000003AF4: 814D844D
	s_cmp_ge_u32 s77, s32                                      // 000000003AF8: BF09204D
	s_cbranch_scc1 label_07B7                                  // 000000003AFC: BF8500F7
	global_atomic_pk_add_bf16 v10, v80, s[80:81]               // 000000003B00: DD488000 0050500A
	v_add_u32_e64 v12, v10, s47                                // 000000003B08: D134000C 00005F0A
	s_add_i32 s77, s77, 4                                      // 000000003B10: 814D844D
	s_cmp_ge_u32 s77, s32                                      // 000000003B14: BF09204D
	s_cbranch_scc1 label_07B7                                  // 000000003B18: BF8500F0
	global_atomic_pk_add_bf16 v12, v81, s[80:81]               // 000000003B1C: DD488000 0050510C
	s_add_i32 s77, s77, 4                                      // 000000003B24: 814D844D
	v_add_u32_e64 v4, v4, s49                                  // 000000003B28: D1340004 00006304
	v_mov_b32_e32 v6, v4                                       // 000000003B30: 7E0C0304
	v_add_u32_e64 v10, v4, s48                                 // 000000003B34: D134000A 00006104
	s_cmp_ge_u32 s77, s32                                      // 000000003B3C: BF09204D
	s_cbranch_scc1 label_07B7                                  // 000000003B40: BF8500E6
	global_atomic_pk_add_bf16 v6, v82, s[80:81]                // 000000003B44: DD488000 00505206
	v_add_u32_e64 v8, v6, s47                                  // 000000003B4C: D1340008 00005F06
	s_add_i32 s77, s77, 4                                      // 000000003B54: 814D844D
	s_cmp_ge_u32 s77, s32                                      // 000000003B58: BF09204D
	s_cbranch_scc1 label_07B7                                  // 000000003B5C: BF8500DF
	global_atomic_pk_add_bf16 v8, v83, s[80:81]                // 000000003B60: DD488000 00505308
	s_add_i32 s77, s77, 4                                      // 000000003B68: 814D844D
	s_cmp_ge_u32 s77, s32                                      // 000000003B6C: BF09204D
	s_cbranch_scc1 label_07B7                                  // 000000003B70: BF8500DA
	global_atomic_pk_add_bf16 v10, v84, s[80:81]               // 000000003B74: DD488000 0050540A
	v_add_u32_e64 v12, v10, s47                                // 000000003B7C: D134000C 00005F0A
	s_add_i32 s77, s77, 4                                      // 000000003B84: 814D844D
	s_cmp_ge_u32 s77, s32                                      // 000000003B88: BF09204D
	s_cbranch_scc1 label_07B7                                  // 000000003B8C: BF8500D3
	global_atomic_pk_add_bf16 v12, v85, s[80:81]               // 000000003B90: DD488000 0050550C
	s_add_i32 s77, s77, 4                                      // 000000003B98: 814D844D
	v_add_u32_e64 v4, v4, s49                                  // 000000003B9C: D1340004 00006304
	v_mov_b32_e32 v6, v4                                       // 000000003BA4: 7E0C0304
	v_add_u32_e64 v10, v4, s48                                 // 000000003BA8: D134000A 00006104
	s_cmp_ge_u32 s77, s32                                      // 000000003BB0: BF09204D
	s_cbranch_scc1 label_07B7                                  // 000000003BB4: BF8500C9
	global_atomic_pk_add_bf16 v6, v86, s[80:81]                // 000000003BB8: DD488000 00505606
	v_add_u32_e64 v8, v6, s47                                  // 000000003BC0: D1340008 00005F06
	s_add_i32 s77, s77, 4                                      // 000000003BC8: 814D844D
	s_cmp_ge_u32 s77, s32                                      // 000000003BCC: BF09204D
	s_cbranch_scc1 label_07B7                                  // 000000003BD0: BF8500C2
	global_atomic_pk_add_bf16 v8, v87, s[80:81]                // 000000003BD4: DD488000 00505708
	s_add_i32 s77, s77, 4                                      // 000000003BDC: 814D844D
	s_cmp_ge_u32 s77, s32                                      // 000000003BE0: BF09204D
	s_cbranch_scc1 label_07B7                                  // 000000003BE4: BF8500BD
	global_atomic_pk_add_bf16 v10, v88, s[80:81]               // 000000003BE8: DD488000 0050580A
	v_add_u32_e64 v12, v10, s47                                // 000000003BF0: D134000C 00005F0A
	s_add_i32 s77, s77, 4                                      // 000000003BF8: 814D844D
	s_cmp_ge_u32 s77, s32                                      // 000000003BFC: BF09204D
	s_cbranch_scc1 label_07B7                                  // 000000003C00: BF8500B6
	global_atomic_pk_add_bf16 v12, v89, s[80:81]               // 000000003C04: DD488000 0050590C
	s_add_i32 s77, s77, 4                                      // 000000003C0C: 814D844D
	v_add_u32_e64 v4, v4, s49                                  // 000000003C10: D1340004 00006304
	s_branch label_07B7                                        // 000000003C18: BF8200B0

0000000000003c1c <label_0707>:
	v_cvt_f32_i32_e32 v42, v42                                 // 000000003C1C: 7E540B2A
	v_cvt_f32_i32_e32 v43, v43                                 // 000000003C20: 7E560B2B
	v_pk_mul_f32 v[42:43], v[42:43], v[98:99]                  // 000000003C24: D3B1402A 1802C52A
	v_fma_f32 v42, v42, v90, v112                              // 000000003C2C: D1CB002A 05C2B52A
	v_fma_f32 v43, v43, v90, v113                              // 000000003C34: D1CB002B 05C6B52B
	v_perm_b32 v74, v43, v42, s45                              // 000000003C3C: D1ED004A 00B6552B
	v_cvt_f32_i32_e32 v44, v44                                 // 000000003C44: 7E580B2C
	v_cvt_f32_i32_e32 v45, v45                                 // 000000003C48: 7E5A0B2D
	v_pk_mul_f32 v[44:45], v[44:45], v[100:101]                // 000000003C4C: D3B1402C 1802C92C
	v_fma_f32 v44, v44, v90, v114                              // 000000003C54: D1CB002C 05CAB52C
	v_fma_f32 v45, v45, v90, v115                              // 000000003C5C: D1CB002D 05CEB52D
	v_perm_b32 v75, v45, v44, s45                              // 000000003C64: D1ED004B 00B6592D
	buffer_store_dwordx2 v[74:75], v16, s[16:19], 0 offen      // 000000003C6C: E0741000 80044A10
	v_cvt_f32_i32_e32 v46, v46                                 // 000000003C74: 7E5C0B2E
	v_cvt_f32_i32_e32 v47, v47                                 // 000000003C78: 7E5E0B2F
	v_pk_mul_f32 v[46:47], v[46:47], v[102:103]                // 000000003C7C: D3B1402E 1802CD2E
	v_fma_f32 v46, v46, v90, v116                              // 000000003C84: D1CB002E 05D2B52E
	v_fma_f32 v47, v47, v90, v117                              // 000000003C8C: D1CB002F 05D6B52F
	v_perm_b32 v76, v47, v46, s45                              // 000000003C94: D1ED004C 00B65D2F
	v_cvt_f32_i32_e32 v48, v48                                 // 000000003C9C: 7E600B30
	v_cvt_f32_i32_e32 v49, v49                                 // 000000003CA0: 7E620B31
	v_pk_mul_f32 v[48:49], v[48:49], v[104:105]                // 000000003CA4: D3B14030 1802D130
	v_fma_f32 v48, v48, v90, v118                              // 000000003CAC: D1CB0030 05DAB530
	v_fma_f32 v49, v49, v90, v119                              // 000000003CB4: D1CB0031 05DEB531
	v_perm_b32 v77, v49, v48, s45                              // 000000003CBC: D1ED004D 00B66131
	buffer_store_dwordx2 v[76:77], v16, s[16:19], 0 offen offset:32// 000000003CC4: E0741020 80044C10
	v_cvt_f32_i32_e32 v50, v50                                 // 000000003CCC: 7E640B32
	v_cvt_f32_i32_e32 v51, v51                                 // 000000003CD0: 7E660B33
	v_pk_mul_f32 v[50:51], v[50:51], v[98:99]                  // 000000003CD4: D3B14032 1802C532
	v_fma_f32 v50, v50, v91, v112                              // 000000003CDC: D1CB0032 05C2B732
	v_fma_f32 v51, v51, v91, v113                              // 000000003CE4: D1CB0033 05C6B733
	v_perm_b32 v78, v51, v50, s45                              // 000000003CEC: D1ED004E 00B66533
	v_cvt_f32_i32_e32 v52, v52                                 // 000000003CF4: 7E680B34
	v_cvt_f32_i32_e32 v53, v53                                 // 000000003CF8: 7E6A0B35
	v_pk_mul_f32 v[52:53], v[52:53], v[100:101]                // 000000003CFC: D3B14034 1802C934
	v_fma_f32 v52, v52, v91, v114                              // 000000003D04: D1CB0034 05CAB734
	v_fma_f32 v53, v53, v91, v115                              // 000000003D0C: D1CB0035 05CEB735
	v_perm_b32 v79, v53, v52, s45                              // 000000003D14: D1ED004F 00B66935
	buffer_store_dwordx2 v[78:79], v17, s[16:19], 0 offen      // 000000003D1C: E0741000 80044E11
	v_cvt_f32_i32_e32 v54, v54                                 // 000000003D24: 7E6C0B36
	v_cvt_f32_i32_e32 v55, v55                                 // 000000003D28: 7E6E0B37
	v_pk_mul_f32 v[54:55], v[54:55], v[102:103]                // 000000003D2C: D3B14036 1802CD36
	v_fma_f32 v54, v54, v91, v116                              // 000000003D34: D1CB0036 05D2B736
	v_fma_f32 v55, v55, v91, v117                              // 000000003D3C: D1CB0037 05D6B737
	v_perm_b32 v80, v55, v54, s45                              // 000000003D44: D1ED0050 00B66D37
	v_cvt_f32_i32_e32 v56, v56                                 // 000000003D4C: 7E700B38
	v_cvt_f32_i32_e32 v57, v57                                 // 000000003D50: 7E720B39
	v_pk_mul_f32 v[56:57], v[56:57], v[104:105]                // 000000003D54: D3B14038 1802D138
	v_fma_f32 v56, v56, v91, v118                              // 000000003D5C: D1CB0038 05DAB738
	v_fma_f32 v57, v57, v91, v119                              // 000000003D64: D1CB0039 05DEB739
	v_perm_b32 v81, v57, v56, s45                              // 000000003D6C: D1ED0051 00B67139
	buffer_store_dwordx2 v[80:81], v17, s[16:19], 0 offen offset:32// 000000003D74: E0741020 80045011
	v_cvt_f32_i32_e32 v58, v58                                 // 000000003D7C: 7E740B3A
	v_cvt_f32_i32_e32 v59, v59                                 // 000000003D80: 7E760B3B
	v_pk_mul_f32 v[58:59], v[58:59], v[98:99]                  // 000000003D84: D3B1403A 1802C53A
	v_fma_f32 v58, v58, v92, v112                              // 000000003D8C: D1CB003A 05C2B93A
	v_fma_f32 v59, v59, v92, v113                              // 000000003D94: D1CB003B 05C6B93B
	v_perm_b32 v82, v59, v58, s45                              // 000000003D9C: D1ED0052 00B6753B
	v_cvt_f32_i32_e32 v60, v60                                 // 000000003DA4: 7E780B3C
	v_cvt_f32_i32_e32 v61, v61                                 // 000000003DA8: 7E7A0B3D
	v_pk_mul_f32 v[60:61], v[60:61], v[100:101]                // 000000003DAC: D3B1403C 1802C93C
	v_fma_f32 v60, v60, v92, v114                              // 000000003DB4: D1CB003C 05CAB93C
	v_fma_f32 v61, v61, v92, v115                              // 000000003DBC: D1CB003D 05CEB93D
	v_perm_b32 v83, v61, v60, s45                              // 000000003DC4: D1ED0053 00B6793D
	buffer_store_dwordx2 v[82:83], v18, s[16:19], 0 offen      // 000000003DCC: E0741000 80045212
	v_cvt_f32_i32_e32 v62, v62                                 // 000000003DD4: 7E7C0B3E
	v_cvt_f32_i32_e32 v63, v63                                 // 000000003DD8: 7E7E0B3F
	v_pk_mul_f32 v[62:63], v[62:63], v[102:103]                // 000000003DDC: D3B1403E 1802CD3E
	v_fma_f32 v62, v62, v92, v116                              // 000000003DE4: D1CB003E 05D2B93E
	v_fma_f32 v63, v63, v92, v117                              // 000000003DEC: D1CB003F 05D6B93F
	v_perm_b32 v84, v63, v62, s45                              // 000000003DF4: D1ED0054 00B67D3F
	v_cvt_f32_i32_e32 v64, v64                                 // 000000003DFC: 7E800B40
	v_cvt_f32_i32_e32 v65, v65                                 // 000000003E00: 7E820B41
	v_pk_mul_f32 v[64:65], v[64:65], v[104:105]                // 000000003E04: D3B14040 1802D140
	v_fma_f32 v64, v64, v92, v118                              // 000000003E0C: D1CB0040 05DAB940
	v_fma_f32 v65, v65, v92, v119                              // 000000003E14: D1CB0041 05DEB941
	v_perm_b32 v85, v65, v64, s45                              // 000000003E1C: D1ED0055 00B68141
	buffer_store_dwordx2 v[84:85], v18, s[16:19], 0 offen offset:32// 000000003E24: E0741020 80045412
	v_cvt_f32_i32_e32 v66, v66                                 // 000000003E2C: 7E840B42
	v_cvt_f32_i32_e32 v67, v67                                 // 000000003E30: 7E860B43
	v_pk_mul_f32 v[66:67], v[66:67], v[98:99]                  // 000000003E34: D3B14042 1802C542
	v_fma_f32 v66, v66, v93, v112                              // 000000003E3C: D1CB0042 05C2BB42
	v_fma_f32 v67, v67, v93, v113                              // 000000003E44: D1CB0043 05C6BB43
	v_perm_b32 v86, v67, v66, s45                              // 000000003E4C: D1ED0056 00B68543
	v_cvt_f32_i32_e32 v68, v68                                 // 000000003E54: 7E880B44
	v_cvt_f32_i32_e32 v69, v69                                 // 000000003E58: 7E8A0B45
	v_pk_mul_f32 v[68:69], v[68:69], v[100:101]                // 000000003E5C: D3B14044 1802C944
	v_fma_f32 v68, v68, v93, v114                              // 000000003E64: D1CB0044 05CABB44
	v_fma_f32 v69, v69, v93, v115                              // 000000003E6C: D1CB0045 05CEBB45
	v_perm_b32 v87, v69, v68, s45                              // 000000003E74: D1ED0057 00B68945
	buffer_store_dwordx2 v[86:87], v19, s[16:19], 0 offen      // 000000003E7C: E0741000 80045613
	v_cvt_f32_i32_e32 v70, v70                                 // 000000003E84: 7E8C0B46
	v_cvt_f32_i32_e32 v71, v71                                 // 000000003E88: 7E8E0B47
	v_pk_mul_f32 v[70:71], v[70:71], v[102:103]                // 000000003E8C: D3B14046 1802CD46
	v_fma_f32 v70, v70, v93, v116                              // 000000003E94: D1CB0046 05D2BB46
	v_fma_f32 v71, v71, v93, v117                              // 000000003E9C: D1CB0047 05D6BB47
	v_perm_b32 v88, v71, v70, s45                              // 000000003EA4: D1ED0058 00B68D47
	v_cvt_f32_i32_e32 v72, v72                                 // 000000003EAC: 7E900B48
	v_cvt_f32_i32_e32 v73, v73                                 // 000000003EB0: 7E920B49
	v_pk_mul_f32 v[72:73], v[72:73], v[104:105]                // 000000003EB4: D3B14048 1802D148
	v_fma_f32 v72, v72, v93, v118                              // 000000003EBC: D1CB0048 05DABB48
	v_fma_f32 v73, v73, v93, v119                              // 000000003EC4: D1CB0049 05DEBB49
	v_perm_b32 v89, v73, v72, s45                              // 000000003ECC: D1ED0059 00B69149
	buffer_store_dwordx2 v[88:89], v19, s[16:19], 0 offen offset:32// 000000003ED4: E0741020 80045813

0000000000003edc <label_07B7>:
	s_waitcnt vmcnt(0) expcnt(0) lgkmcnt(0)                    // 000000003EDC: BF8C0000
	s_endpgm                                                   // 000000003EE0: BF810000
